;; amdgpu-corpus repo=ROCm/rocFFT kind=compiled arch=gfx906 opt=O3
	.text
	.amdgcn_target "amdgcn-amd-amdhsa--gfx906"
	.amdhsa_code_object_version 6
	.protected	bluestein_single_fwd_len663_dim1_sp_op_CI_CI ; -- Begin function bluestein_single_fwd_len663_dim1_sp_op_CI_CI
	.globl	bluestein_single_fwd_len663_dim1_sp_op_CI_CI
	.p2align	8
	.type	bluestein_single_fwd_len663_dim1_sp_op_CI_CI,@function
bluestein_single_fwd_len663_dim1_sp_op_CI_CI: ; @bluestein_single_fwd_len663_dim1_sp_op_CI_CI
; %bb.0:
	s_load_dwordx4 s[0:3], s[4:5], 0x28
	v_mul_u32_u24_e32 v1, 0x506, v0
	v_add_u32_sdwa v76, s6, v1 dst_sel:DWORD dst_unused:UNUSED_PAD src0_sel:DWORD src1_sel:WORD_1
	v_mov_b32_e32 v77, 0
	s_waitcnt lgkmcnt(0)
	v_cmp_gt_u64_e32 vcc, s[0:1], v[76:77]
	s_and_saveexec_b64 s[0:1], vcc
	s_cbranch_execz .LBB0_23
; %bb.1:
	s_load_dwordx2 s[8:9], s[4:5], 0x0
	s_load_dwordx2 s[10:11], s[4:5], 0x38
	v_mov_b32_e32 v2, 51
	v_mul_lo_u16_sdwa v1, v1, v2 dst_sel:DWORD dst_unused:UNUSED_PAD src0_sel:WORD_1 src1_sel:DWORD
	v_sub_u16_e32 v92, v0, v1
	v_cmp_gt_u16_e64 s[0:1], 39, v92
	v_lshlrev_b32_e32 v91, 3, v92
	s_and_saveexec_b64 s[6:7], s[0:1]
	s_cbranch_execz .LBB0_3
; %bb.2:
	s_load_dwordx2 s[12:13], s[4:5], 0x18
	s_waitcnt lgkmcnt(0)
	s_load_dwordx4 s[12:15], s[12:13], 0x0
	s_waitcnt lgkmcnt(0)
	v_mad_u64_u32 v[0:1], s[16:17], s14, v76, 0
	v_mad_u64_u32 v[2:3], s[16:17], s12, v92, 0
	;; [unrolled: 1-line block ×4, first 2 shown]
	v_mov_b32_e32 v1, v4
	v_lshlrev_b64 v[0:1], 3, v[0:1]
	v_mov_b32_e32 v3, v5
	v_mov_b32_e32 v6, s3
	v_lshlrev_b64 v[2:3], 3, v[2:3]
	v_add_co_u32_e32 v0, vcc, s2, v0
	v_addc_co_u32_e32 v1, vcc, v6, v1, vcc
	v_add_co_u32_e32 v0, vcc, v0, v2
	v_addc_co_u32_e32 v1, vcc, v1, v3, vcc
	v_mov_b32_e32 v2, s9
	v_add_co_u32_e32 v60, vcc, s8, v91
	s_mul_i32 s2, s13, 0x138
	s_mul_hi_u32 s3, s12, 0x138
	v_addc_co_u32_e32 v61, vcc, 0, v2, vcc
	s_add_i32 s2, s3, s2
	s_mul_i32 s3, s12, 0x138
	v_mov_b32_e32 v3, s2
	v_add_co_u32_e32 v2, vcc, s3, v0
	v_addc_co_u32_e32 v3, vcc, v1, v3, vcc
	v_mov_b32_e32 v5, s2
	v_add_co_u32_e32 v4, vcc, s3, v2
	v_addc_co_u32_e32 v5, vcc, v3, v5, vcc
	;; [unrolled: 3-line block ×3, first 2 shown]
	global_load_dwordx2 v[8:9], v[0:1], off
	global_load_dwordx2 v[10:11], v[2:3], off
	;; [unrolled: 1-line block ×4, first 2 shown]
	global_load_dwordx2 v[16:17], v91, s[8:9]
	global_load_dwordx2 v[18:19], v91, s[8:9] offset:312
	global_load_dwordx2 v[20:21], v91, s[8:9] offset:624
	;; [unrolled: 1-line block ×3, first 2 shown]
	v_mov_b32_e32 v1, s2
	v_add_co_u32_e32 v0, vcc, s3, v6
	v_addc_co_u32_e32 v1, vcc, v7, v1, vcc
	global_load_dwordx2 v[2:3], v[0:1], off
	v_mov_b32_e32 v4, s2
	v_add_co_u32_e32 v0, vcc, s3, v0
	v_addc_co_u32_e32 v1, vcc, v1, v4, vcc
	global_load_dwordx2 v[4:5], v[0:1], off
	;; [unrolled: 4-line block ×4, first 2 shown]
	global_load_dwordx2 v[26:27], v91, s[8:9] offset:1248
	global_load_dwordx2 v[28:29], v91, s[8:9] offset:1560
	;; [unrolled: 1-line block ×4, first 2 shown]
	v_mov_b32_e32 v34, s2
	v_add_co_u32_e32 v0, vcc, s3, v0
	v_addc_co_u32_e32 v1, vcc, v1, v34, vcc
	global_load_dwordx2 v[34:35], v[0:1], off
	v_mov_b32_e32 v36, s2
	v_add_co_u32_e32 v0, vcc, s3, v0
	v_addc_co_u32_e32 v1, vcc, v1, v36, vcc
	global_load_dwordx2 v[36:37], v[0:1], off
	;; [unrolled: 4-line block ×4, first 2 shown]
	global_load_dwordx2 v[42:43], v91, s[8:9] offset:2496
	global_load_dwordx2 v[44:45], v91, s[8:9] offset:2808
	;; [unrolled: 1-line block ×4, first 2 shown]
	v_mov_b32_e32 v50, s2
	v_add_co_u32_e32 v0, vcc, s3, v0
	v_addc_co_u32_e32 v1, vcc, v1, v50, vcc
	global_load_dwordx2 v[50:51], v[0:1], off
	v_mov_b32_e32 v52, s2
	v_add_co_u32_e32 v0, vcc, s3, v0
	v_addc_co_u32_e32 v1, vcc, v1, v52, vcc
	global_load_dwordx2 v[52:53], v[0:1], off
	global_load_dwordx2 v[54:55], v91, s[8:9] offset:3744
	global_load_dwordx2 v[56:57], v91, s[8:9] offset:4056
	v_mov_b32_e32 v58, s2
	v_add_co_u32_e32 v0, vcc, s3, v0
	v_addc_co_u32_e32 v1, vcc, v1, v58, vcc
	s_movk_i32 s12, 0x1000
	v_add_co_u32_e32 v60, vcc, s12, v60
	v_addc_co_u32_e32 v61, vcc, 0, v61, vcc
	global_load_dwordx2 v[58:59], v[0:1], off
	v_mov_b32_e32 v64, s2
	v_add_co_u32_e32 v0, vcc, s3, v0
	v_addc_co_u32_e32 v1, vcc, v1, v64, vcc
	global_load_dwordx2 v[62:63], v[60:61], off offset:272
	global_load_dwordx2 v[64:65], v[0:1], off
	global_load_dwordx2 v[66:67], v[60:61], off offset:584
	v_mov_b32_e32 v68, s2
	v_add_co_u32_e32 v0, vcc, s3, v0
	v_addc_co_u32_e32 v1, vcc, v1, v68, vcc
	global_load_dwordx2 v[68:69], v[0:1], off
	global_load_dwordx2 v[70:71], v[60:61], off offset:896
	s_waitcnt vmcnt(29)
	v_mul_f32_e32 v0, v9, v17
	v_mul_f32_e32 v1, v8, v17
	v_fmac_f32_e32 v0, v8, v16
	v_fma_f32 v1, v9, v16, -v1
	s_waitcnt vmcnt(28)
	v_mul_f32_e32 v8, v11, v19
	v_mul_f32_e32 v9, v10, v19
	v_fmac_f32_e32 v8, v10, v18
	v_fma_f32 v9, v11, v18, -v9
	ds_write2_b64 v91, v[0:1], v[8:9] offset1:39
	s_waitcnt vmcnt(27)
	v_mul_f32_e32 v0, v13, v21
	v_mul_f32_e32 v1, v12, v21
	s_waitcnt vmcnt(26)
	v_mul_f32_e32 v8, v15, v23
	v_mul_f32_e32 v9, v14, v23
	v_fmac_f32_e32 v0, v12, v20
	v_fma_f32 v1, v13, v20, -v1
	v_fmac_f32_e32 v8, v14, v22
	v_fma_f32 v9, v15, v22, -v9
	ds_write2_b64 v91, v[0:1], v[8:9] offset0:78 offset1:117
	s_waitcnt vmcnt(21)
	v_mul_f32_e32 v0, v3, v27
	v_mul_f32_e32 v1, v2, v27
	v_fmac_f32_e32 v0, v2, v26
	v_fma_f32 v1, v3, v26, -v1
	s_waitcnt vmcnt(20)
	v_mul_f32_e32 v2, v5, v29
	v_mul_f32_e32 v3, v4, v29
	v_fmac_f32_e32 v2, v4, v28
	v_fma_f32 v3, v5, v28, -v3
	ds_write2_b64 v91, v[0:1], v[2:3] offset0:156 offset1:195
	s_waitcnt vmcnt(19)
	v_mul_f32_e32 v0, v7, v31
	v_mul_f32_e32 v1, v6, v31
	s_waitcnt vmcnt(18)
	v_mul_f32_e32 v2, v25, v33
	v_mul_f32_e32 v3, v24, v33
	v_fmac_f32_e32 v0, v6, v30
	v_fma_f32 v1, v7, v30, -v1
	v_fmac_f32_e32 v2, v24, v32
	v_fma_f32 v3, v25, v32, -v3
	v_add_u32_e32 v4, 0x400, v91
	ds_write2_b64 v4, v[0:1], v[2:3] offset0:106 offset1:145
	v_add_u32_e32 v4, 0x800, v91
	s_waitcnt vmcnt(13)
	v_mul_f32_e32 v0, v35, v43
	v_mul_f32_e32 v1, v34, v43
	s_waitcnt vmcnt(12)
	v_mul_f32_e32 v2, v37, v45
	v_mul_f32_e32 v3, v36, v45
	v_fmac_f32_e32 v0, v34, v42
	v_fma_f32 v1, v35, v42, -v1
	v_fmac_f32_e32 v2, v36, v44
	v_fma_f32 v3, v37, v44, -v3
	ds_write2_b64 v4, v[0:1], v[2:3] offset0:56 offset1:95
	s_waitcnt vmcnt(11)
	v_mul_f32_e32 v0, v39, v47
	v_mul_f32_e32 v1, v38, v47
	s_waitcnt vmcnt(10)
	v_mul_f32_e32 v2, v41, v49
	v_mul_f32_e32 v3, v40, v49
	v_fmac_f32_e32 v0, v38, v46
	v_fma_f32 v1, v39, v46, -v1
	v_fmac_f32_e32 v2, v40, v48
	v_fma_f32 v3, v41, v48, -v3
	ds_write2_b64 v4, v[0:1], v[2:3] offset0:134 offset1:173
	;; [unrolled: 11-line block ×3, first 2 shown]
	v_add_u32_e32 v4, 0x1000, v91
	s_waitcnt vmcnt(4)
	v_mul_f32_e32 v0, v59, v63
	v_mul_f32_e32 v1, v58, v63
	s_waitcnt vmcnt(2)
	v_mul_f32_e32 v2, v65, v67
	v_mul_f32_e32 v3, v64, v67
	v_fmac_f32_e32 v0, v58, v62
	v_fma_f32 v1, v59, v62, -v1
	v_fmac_f32_e32 v2, v64, v66
	v_fma_f32 v3, v65, v66, -v3
	ds_write2_b64 v4, v[0:1], v[2:3] offset0:34 offset1:73
	s_waitcnt vmcnt(0)
	v_mul_f32_e32 v0, v69, v71
	v_mul_f32_e32 v1, v68, v71
	v_fmac_f32_e32 v0, v68, v70
	v_fma_f32 v1, v69, v70, -v1
	ds_write_b64 v91, v[0:1] offset:4992
.LBB0_3:
	s_or_b64 exec, exec, s[6:7]
	s_load_dwordx2 s[2:3], s[4:5], 0x20
	s_load_dwordx2 s[12:13], s[4:5], 0x8
	v_mov_b32_e32 v4, 0
	v_mov_b32_e32 v5, 0
	s_waitcnt lgkmcnt(0)
	; wave barrier
	s_waitcnt lgkmcnt(0)
                                        ; implicit-def: $vgpr10
                                        ; implicit-def: $vgpr12
                                        ; implicit-def: $vgpr28
                                        ; implicit-def: $vgpr32
                                        ; implicit-def: $vgpr0
                                        ; implicit-def: $vgpr26
                                        ; implicit-def: $vgpr22
                                        ; implicit-def: $vgpr18
	s_and_saveexec_b64 s[4:5], s[0:1]
	s_cbranch_execz .LBB0_5
; %bb.4:
	v_add_u32_e32 v0, 0x400, v91
	ds_read2_b64 v[4:7], v91 offset1:39
	ds_read2_b64 v[16:19], v91 offset0:78 offset1:117
	ds_read2_b64 v[20:23], v91 offset0:156 offset1:195
	;; [unrolled: 1-line block ×3, first 2 shown]
	v_add_u32_e32 v0, 0x800, v91
	ds_read2_b64 v[8:11], v0 offset0:56 offset1:95
	ds_read2_b64 v[12:15], v0 offset0:134 offset1:173
	;; [unrolled: 1-line block ×3, first 2 shown]
	v_add_u32_e32 v0, 0x1000, v91
	ds_read2_b64 v[32:35], v0 offset0:34 offset1:73
	ds_read_b64 v[0:1], v91 offset:4992
.LBB0_5:
	s_or_b64 exec, exec, s[4:5]
	s_waitcnt lgkmcnt(0)
	v_sub_f32_e32 v64, v7, v1
	v_mul_f32_e32 v51, 0xbeb8f4ab, v64
	v_sub_f32_e32 v68, v17, v35
	v_add_f32_e32 v38, v0, v6
	v_sub_f32_e32 v67, v6, v0
	v_mov_b32_e32 v2, v51
	v_mul_f32_e32 v55, 0xbf2c7751, v68
	v_add_f32_e32 v39, v1, v7
	s_mov_b32 s6, 0x3f6eb680
	v_mul_f32_e32 v53, 0xbeb8f4ab, v67
	v_fmac_f32_e32 v2, 0x3f6eb680, v38
	v_add_f32_e32 v40, v34, v16
	v_sub_f32_e32 v71, v16, v34
	v_mov_b32_e32 v36, v55
	v_add_f32_e32 v2, v2, v4
	v_fma_f32 v3, v39, s6, -v53
	s_mov_b32 s7, 0x3f3d2fb0
	v_add_f32_e32 v41, v35, v17
	v_mul_f32_e32 v56, 0xbf2c7751, v71
	v_fmac_f32_e32 v36, 0x3f3d2fb0, v40
	v_sub_f32_e32 v74, v19, v33
	v_add_f32_e32 v3, v3, v5
	v_add_f32_e32 v2, v36, v2
	v_fma_f32 v36, v41, s7, -v56
	v_mul_f32_e32 v58, 0xbf65296c, v74
	v_add_f32_e32 v3, v36, v3
	v_add_f32_e32 v42, v32, v18
	v_sub_f32_e32 v81, v18, v32
	v_mov_b32_e32 v36, v58
	s_mov_b32 s14, 0x3ee437d1
	v_add_f32_e32 v43, v33, v19
	v_mul_f32_e32 v59, 0xbf65296c, v81
	v_fmac_f32_e32 v36, 0x3ee437d1, v42
	v_sub_f32_e32 v82, v21, v31
	v_add_f32_e32 v2, v36, v2
	v_fma_f32 v36, v43, s14, -v59
	v_mul_f32_e32 v60, 0xbf7ee86f, v82
	v_add_f32_e32 v3, v36, v3
	v_add_f32_e32 v44, v30, v20
	v_sub_f32_e32 v84, v20, v30
	v_mov_b32_e32 v36, v60
	s_mov_b32 s15, 0x3dbcf732
	v_add_f32_e32 v45, v31, v21
	v_mul_f32_e32 v61, 0xbf7ee86f, v84
	v_fmac_f32_e32 v36, 0x3dbcf732, v44
	v_sub_f32_e32 v85, v23, v29
	;; [unrolled: 12-line block ×5, first 2 shown]
	v_add_f32_e32 v2, v36, v2
	v_fma_f32 v36, v52, s19, -v70
	v_mul_f32_e32 v75, 0xbe3c28d5, v109
	v_add_f32_e32 v3, v36, v3
	v_add_f32_e32 v54, v10, v8
	v_mov_b32_e32 v36, v75
	v_sub_f32_e32 v118, v8, v10
	s_mov_b32 s17, 0xbf7ba420
	v_fmac_f32_e32 v36, 0xbf7ba420, v54
	v_add_f32_e32 v57, v11, v9
	v_mul_f32_e32 v83, 0xbe3c28d5, v118
	v_add_f32_e32 v77, v36, v2
	v_fma_f32 v2, v57, s17, -v83
	v_mul_f32_e32 v86, 0xbf2c7751, v64
	v_add_f32_e32 v78, v2, v3
	v_mov_b32_e32 v2, v86
	v_mul_f32_e32 v87, 0xbf7ee86f, v68
	v_fmac_f32_e32 v2, 0x3f3d2fb0, v38
	v_mov_b32_e32 v3, v87
	v_add_f32_e32 v2, v2, v4
	v_fmac_f32_e32 v3, 0x3dbcf732, v40
	v_mul_f32_e32 v94, 0xbf2c7751, v67
	v_add_f32_e32 v2, v3, v2
	v_fma_f32 v3, v39, s7, -v94
	v_mul_f32_e32 v95, 0xbf7ee86f, v71
	v_add_f32_e32 v3, v3, v5
	v_fma_f32 v36, v41, s15, -v95
	v_mul_f32_e32 v88, 0xbf4c4adb, v74
	v_add_f32_e32 v3, v36, v3
	v_mov_b32_e32 v36, v88
	v_fmac_f32_e32 v36, 0xbf1a4643, v42
	v_mul_f32_e32 v98, 0xbf4c4adb, v81
	v_add_f32_e32 v2, v36, v2
	v_fma_f32 v36, v43, s16, -v98
	v_mul_f32_e32 v89, 0xbe3c28d5, v82
	v_add_f32_e32 v3, v36, v3
	v_mov_b32_e32 v36, v89
	v_fmac_f32_e32 v36, 0xbf7ba420, v44
	;; [unrolled: 7-line block ×6, first 2 shown]
	v_mul_f32_e32 v107, 0x3eb8f4ab, v118
	v_add_f32_e32 v79, v36, v2
	v_fma_f32 v2, v57, s6, -v107
	v_mul_f32_e32 v110, 0xbf65296c, v64
	v_add_f32_e32 v80, v2, v3
	v_mov_b32_e32 v2, v110
	v_mul_f32_e32 v111, 0xbf4c4adb, v68
	v_fmac_f32_e32 v2, 0x3ee437d1, v38
	v_mov_b32_e32 v3, v111
	v_add_f32_e32 v2, v2, v4
	v_fmac_f32_e32 v3, 0xbf1a4643, v40
	v_mul_f32_e32 v115, 0xbf65296c, v67
	v_add_f32_e32 v2, v3, v2
	v_fma_f32 v3, v39, s14, -v115
	v_mul_f32_e32 v116, 0xbf4c4adb, v71
	v_add_f32_e32 v3, v3, v5
	v_fma_f32 v36, v41, s16, -v116
	v_mul_f32_e32 v112, 0x3e3c28d5, v74
	v_add_f32_e32 v3, v36, v3
	v_mov_b32_e32 v36, v112
	v_fmac_f32_e32 v36, 0xbf7ba420, v42
	v_mul_f32_e32 v119, 0x3e3c28d5, v81
	v_add_f32_e32 v2, v36, v2
	v_fma_f32 v36, v43, s17, -v119
	v_mul_f32_e32 v113, 0x3f763a35, v82
	v_add_f32_e32 v3, v36, v3
	v_mov_b32_e32 v36, v113
	v_fmac_f32_e32 v36, 0xbe8c1d8e, v44
	;; [unrolled: 7-line block ×6, first 2 shown]
	v_mul_f32_e32 v126, 0xbf06c442, v118
	v_add_f32_e32 v72, v36, v2
	v_fma_f32 v2, v57, s19, -v126
	v_mul_f32_e32 v127, 0xbf7ee86f, v64
	v_add_f32_e32 v73, v2, v3
	v_mov_b32_e32 v2, v127
	v_mul_f32_e32 v128, 0xbe3c28d5, v68
	v_fmac_f32_e32 v2, 0x3dbcf732, v38
	v_mov_b32_e32 v3, v128
	v_add_f32_e32 v2, v2, v4
	v_fmac_f32_e32 v3, 0xbf7ba420, v40
	v_mul_f32_e32 v134, 0xbf7ee86f, v67
	v_add_f32_e32 v2, v3, v2
	v_fma_f32 v3, v39, s15, -v134
	v_mul_f32_e32 v135, 0xbe3c28d5, v71
	v_add_f32_e32 v3, v3, v5
	v_fma_f32 v36, v41, s17, -v135
	v_mul_f32_e32 v129, 0x3f763a35, v74
	v_add_f32_e32 v3, v36, v3
	v_mov_b32_e32 v36, v129
	v_fmac_f32_e32 v36, 0xbe8c1d8e, v42
	v_mul_f32_e32 v137, 0x3f763a35, v81
	v_add_f32_e32 v2, v36, v2
	v_fma_f32 v36, v43, s18, -v137
	v_mul_f32_e32 v130, 0x3eb8f4ab, v82
	v_add_f32_e32 v3, v36, v3
	v_mov_b32_e32 v36, v130
	v_fmac_f32_e32 v36, 0x3f6eb680, v44
	;; [unrolled: 7-line block ×5, first 2 shown]
	v_mul_f32_e32 v141, 0x3f4c4adb, v108
	v_add_f32_e32 v2, v36, v2
	v_fma_f32 v36, v52, s16, -v141
	v_mul_f32_e32 v136, 0x3f2c7751, v109
	v_add_f32_e32 v3, v36, v3
	v_mov_b32_e32 v36, v136
	v_mul_f32_e32 v142, 0x3f2c7751, v118
	v_fmac_f32_e32 v36, 0x3f3d2fb0, v54
	v_fma_f32 v37, v57, s7, -v142
	v_add_f32_e32 v2, v36, v2
	v_add_f32_e32 v3, v37, v3
	s_waitcnt lgkmcnt(0)
	; wave barrier
	s_and_saveexec_b64 s[4:5], s[0:1]
	s_cbranch_execz .LBB0_7
; %bb.6:
	v_mul_f32_e32 v202, 0xbe3c28d5, v67
	v_mov_b32_e32 v36, v202
	v_mul_f32_e32 v203, 0x3eb8f4ab, v71
	v_fmac_f32_e32 v36, 0xbf7ba420, v39
	v_mov_b32_e32 v37, v203
	v_add_f32_e32 v36, v36, v5
	v_fmac_f32_e32 v37, 0x3f6eb680, v41
	v_mul_f32_e32 v204, 0xbf06c442, v81
	v_add_f32_e32 v36, v37, v36
	v_mov_b32_e32 v37, v204
	v_fmac_f32_e32 v37, 0xbf59a7d5, v43
	v_mul_f32_e32 v205, 0x3f2c7751, v84
	v_add_f32_e32 v36, v37, v36
	v_mov_b32_e32 v37, v205
	;; [unrolled: 4-line block ×6, first 2 shown]
	v_fmac_f32_e32 v37, 0x3dbcf732, v57
	v_mul_f32_e32 v210, 0xbe3c28d5, v64
	v_add_f32_e32 v37, v37, v36
	v_fma_f32 v36, v38, s17, -v210
	v_mul_f32_e32 v211, 0x3eb8f4ab, v68
	v_add_f32_e32 v36, v36, v4
	v_fma_f32 v143, v40, s6, -v211
	v_mul_f32_e32 v212, 0xbf06c442, v74
	v_add_f32_e32 v36, v143, v36
	v_fma_f32 v143, v42, s19, -v212
	v_mul_f32_e32 v213, 0x3f2c7751, v82
	v_add_f32_e32 v36, v143, v36
	v_fma_f32 v143, v44, s7, -v213
	v_mul_f32_e32 v214, 0xbf4c4adb, v85
	v_add_f32_e32 v36, v143, v36
	v_fma_f32 v143, v46, s16, -v214
	v_mul_f32_e32 v215, 0x3f65296c, v97
	v_add_f32_e32 v36, v143, v36
	v_fma_f32 v143, v48, s14, -v215
	v_mul_f32_e32 v216, 0xbf763a35, v106
	v_add_f32_e32 v36, v143, v36
	v_fma_f32 v143, v50, s18, -v216
	v_mul_f32_e32 v217, 0x3f7ee86f, v109
	v_add_f32_e32 v36, v143, v36
	v_fma_f32 v143, v54, s15, -v217
	v_mul_f32_e32 v218, 0xbf06c442, v67
	v_add_f32_e32 v36, v143, v36
	v_mov_b32_e32 v143, v218
	v_mul_f32_e32 v219, 0x3f65296c, v71
	v_fmac_f32_e32 v143, 0xbf59a7d5, v39
	v_mov_b32_e32 v144, v219
	v_add_f32_e32 v143, v143, v5
	v_fmac_f32_e32 v144, 0x3ee437d1, v41
	v_mul_f32_e32 v220, 0xbf7ee86f, v81
	v_add_f32_e32 v143, v144, v143
	v_mov_b32_e32 v144, v220
	v_fmac_f32_e32 v144, 0x3dbcf732, v43
	v_mul_f32_e32 v221, 0x3f4c4adb, v84
	v_add_f32_e32 v143, v144, v143
	v_mov_b32_e32 v144, v221
	;; [unrolled: 4-line block ×6, first 2 shown]
	v_fmac_f32_e32 v144, 0xbe8c1d8e, v57
	v_mul_f32_e32 v226, 0xbf06c442, v64
	v_add_f32_e32 v144, v144, v143
	v_fma_f32 v143, v38, s19, -v226
	v_mul_f32_e32 v227, 0x3f65296c, v68
	v_add_f32_e32 v143, v143, v4
	v_fma_f32 v145, v40, s14, -v227
	;; [unrolled: 3-line block ×8, first 2 shown]
	v_mul_f32_e32 v234, 0xbf4c4adb, v67
	v_add_f32_e32 v143, v145, v143
	v_mov_b32_e32 v145, v234
	v_mul_f32_e32 v235, 0x3f763a35, v71
	v_fmac_f32_e32 v145, 0xbf1a4643, v39
	v_mov_b32_e32 v146, v235
	v_add_f32_e32 v145, v145, v5
	v_fmac_f32_e32 v146, 0xbe8c1d8e, v41
	v_mul_f32_e32 v236, 0xbeb8f4ab, v81
	v_add_f32_e32 v145, v146, v145
	v_mov_b32_e32 v146, v236
	v_fmac_f32_e32 v146, 0x3f6eb680, v43
	v_mul_f32_e32 v237, 0xbf06c442, v84
	v_add_f32_e32 v145, v146, v145
	v_mov_b32_e32 v146, v237
	;; [unrolled: 4-line block ×6, first 2 shown]
	v_fmac_f32_e32 v146, 0x3ee437d1, v57
	v_mul_f32_e32 v242, 0xbf4c4adb, v64
	v_add_f32_e32 v146, v146, v145
	v_fma_f32 v145, v38, s16, -v242
	v_mul_f32_e32 v243, 0x3f763a35, v68
	v_add_f32_e32 v145, v145, v4
	v_fma_f32 v147, v40, s18, -v243
	;; [unrolled: 3-line block ×7, first 2 shown]
	v_mul_f32_e32 v249, 0x3f65296c, v109
	v_mul_f32_e32 v250, 0xbf763a35, v67
	v_add_f32_e32 v145, v147, v145
	v_fma_f32 v147, v54, s14, -v249
	v_mov_b32_e32 v67, v250
	v_mul_f32_e32 v71, 0x3f06c442, v71
	v_add_f32_e32 v145, v147, v145
	v_fmac_f32_e32 v67, 0xbe8c1d8e, v39
	v_mov_b32_e32 v147, v71
	v_mul_f32_e32 v251, 0x3f2c7751, v81
	v_add_f32_e32 v67, v67, v5
	v_fmac_f32_e32 v147, 0xbf59a7d5, v41
	v_mov_b32_e32 v81, v251
	v_add_f32_e32 v67, v147, v67
	v_fmac_f32_e32 v81, 0x3f3d2fb0, v43
	v_mul_f32_e32 v252, 0xbf65296c, v84
	v_add_f32_e32 v67, v81, v67
	v_mov_b32_e32 v81, v252
	v_fmac_f32_e32 v81, 0x3ee437d1, v45
	v_mul_f32_e32 v93, 0xbe3c28d5, v93
	v_add_f32_e32 v67, v81, v67
	v_mov_b32_e32 v81, v93
	;; [unrolled: 4-line block ×5, first 2 shown]
	v_fmac_f32_e32 v81, 0xbf1a4643, v57
	v_mul_f32_e32 v64, 0xbf763a35, v64
	v_add_f32_e32 v148, v81, v67
	v_fma_f32 v67, v38, s18, -v64
	v_mul_f32_e32 v253, 0x3f06c442, v68
	v_add_f32_e32 v67, v67, v4
	v_fma_f32 v68, v40, s19, -v253
	;; [unrolled: 3-line block ×7, first 2 shown]
	v_mul_f32_e32 v109, 0xbf4c4adb, v109
	v_mul_f32_e32 v156, 0x3dbcf732, v39
	v_add_f32_e32 v67, v68, v67
	v_fma_f32 v68, v54, s16, -v109
	v_mul_f32_e32 v164, 0xbf7ba420, v41
	v_add_f32_e32 v147, v68, v67
	v_add_f32_e32 v68, v134, v156
	v_mul_f32_e32 v172, 0xbe8c1d8e, v43
	v_add_f32_e32 v84, v135, v164
	v_add_f32_e32 v68, v68, v5
	;; [unrolled: 3-line block ×8, first 2 shown]
	v_mul_f32_e32 v163, 0xbf7ba420, v40
	v_add_f32_e32 v68, v82, v68
	v_sub_f32_e32 v82, v155, v127
	v_mul_f32_e32 v171, 0xbe8c1d8e, v42
	v_add_f32_e32 v82, v82, v4
	v_sub_f32_e32 v127, v163, v128
	;; [unrolled: 3-line block ×8, first 2 shown]
	v_mul_f32_e32 v162, 0xbf1a4643, v41
	v_add_f32_e32 v67, v82, v67
	v_add_f32_e32 v82, v115, v154
	v_mul_f32_e32 v170, 0xbf7ba420, v43
	v_add_f32_e32 v82, v82, v5
	v_add_f32_e32 v115, v116, v162
	v_mul_f32_e32 v178, 0xbe8c1d8e, v45
	v_add_f32_e32 v82, v115, v82
	v_add_f32_e32 v115, v119, v170
	v_add_f32_e32 v6, v6, v4
	v_mul_f32_e32 v186, 0x3f3d2fb0, v47
	v_add_f32_e32 v82, v115, v82
	v_add_f32_e32 v115, v121, v178
	v_add_f32_e32 v7, v7, v5
	v_add_f32_e32 v6, v16, v6
	v_mul_f32_e32 v194, 0x3f6eb680, v49
	v_add_f32_e32 v82, v115, v82
	v_add_f32_e32 v115, v123, v186
	v_add_f32_e32 v7, v17, v7
	;; [unrolled: 5-line block ×5, first 2 shown]
	v_add_f32_e32 v6, v24, v6
	v_mul_f32_e32 v161, 0xbf1a4643, v40
	v_add_f32_e32 v82, v82, v81
	v_sub_f32_e32 v81, v153, v110
	v_add_f32_e32 v7, v25, v7
	v_add_f32_e32 v6, v26, v6
	v_mul_f32_e32 v169, 0xbf7ba420, v42
	v_add_f32_e32 v81, v81, v4
	v_sub_f32_e32 v85, v161, v111
	v_add_f32_e32 v7, v27, v7
	;; [unrolled: 5-line block ×7, first 2 shown]
	v_add_f32_e32 v6, v30, v6
	v_mul_f32_e32 v150, 0x3f6eb680, v39
	v_mul_f32_e32 v152, 0x3f3d2fb0, v39
	v_add_f32_e32 v81, v85, v81
	v_sub_f32_e32 v85, v138, v122
	v_add_f32_e32 v7, v31, v7
	v_add_f32_e32 v6, v32, v6
	v_mul_f32_e32 v158, 0x3f3d2fb0, v41
	v_mul_f32_e32 v160, 0x3dbcf732, v41
	v_add_f32_e32 v81, v85, v81
	v_add_f32_e32 v85, v94, v152
	v_add_f32_e32 v53, v53, v150
	v_add_f32_e32 v7, v33, v7
	v_add_f32_e32 v6, v34, v6
	v_mul_f32_e32 v166, 0x3ee437d1, v43
	v_mul_f32_e32 v168, 0xbf1a4643, v43
	v_add_f32_e32 v85, v85, v5
	v_add_f32_e32 v94, v95, v160
	;; [unrolled: 1-line block ×6, first 2 shown]
	v_fma_f32 v6, v39, s17, -v202
	v_fma_f32 v8, v39, s19, -v218
	;; [unrolled: 1-line block ×3, first 2 shown]
	v_mul_f32_e32 v174, 0x3dbcf732, v45
	v_mul_f32_e32 v176, 0xbf7ba420, v45
	v_add_f32_e32 v85, v94, v85
	v_add_f32_e32 v94, v98, v168
	;; [unrolled: 1-line block ×6, first 2 shown]
	v_fma_f32 v7, v41, s6, -v203
	v_add_f32_e32 v8, v8, v5
	v_fma_f32 v9, v41, s14, -v219
	v_add_f32_e32 v10, v10, v5
	v_fma_f32 v11, v41, s18, -v235
	v_mul_f32_e32 v182, 0xbe8c1d8e, v47
	v_mul_f32_e32 v184, 0xbf59a7d5, v47
	v_add_f32_e32 v85, v94, v85
	v_add_f32_e32 v94, v100, v176
	v_add_f32_e32 v53, v56, v53
	v_add_f32_e32 v56, v61, v174
	v_add_f32_e32 v6, v7, v6
	v_fma_f32 v7, v43, s19, -v204
	v_add_f32_e32 v8, v9, v8
	v_fma_f32 v9, v43, s15, -v220
	v_add_f32_e32 v10, v11, v10
	v_fma_f32 v11, v43, s6, -v236
	v_mul_f32_e32 v190, 0xbf1a4643, v49
	v_mul_f32_e32 v192, 0xbe8c1d8e, v49
	v_add_f32_e32 v85, v94, v85
	v_add_f32_e32 v94, v102, v184
	v_add_f32_e32 v53, v56, v53
	v_add_f32_e32 v56, v63, v182
	v_add_f32_e32 v6, v7, v6
	v_fma_f32 v7, v45, s7, -v205
	v_add_f32_e32 v8, v9, v8
	v_fma_f32 v9, v45, s16, -v221
	v_add_f32_e32 v10, v11, v10
	v_fma_f32 v11, v45, s19, -v237
	v_mul_f32_e32 v198, 0xbf59a7d5, v52
	v_mul_f32_e32 v200, 0x3ee437d1, v52
	v_add_f32_e32 v85, v94, v85
	v_add_f32_e32 v94, v103, v192
	v_add_f32_e32 v53, v56, v53
	v_add_f32_e32 v56, v66, v190
	v_add_f32_e32 v6, v7, v6
	v_fma_f32 v7, v47, s16, -v206
	v_add_f32_e32 v8, v9, v8
	v_fma_f32 v9, v47, s6, -v222
	v_add_f32_e32 v10, v11, v10
	v_fma_f32 v11, v47, s15, -v238
	v_mul_f32_e32 v149, 0x3f6eb680, v38
	v_mul_f32_e32 v135, 0xbf7ba420, v57
	;; [unrolled: 1-line block ×3, first 2 shown]
	v_add_f32_e32 v85, v94, v85
	v_add_f32_e32 v94, v104, v200
	;; [unrolled: 1-line block ×5, first 2 shown]
	v_fma_f32 v7, v49, s14, -v207
	v_add_f32_e32 v8, v9, v8
	v_fma_f32 v9, v49, s17, -v223
	v_add_f32_e32 v10, v11, v10
	v_fma_f32 v11, v49, s7, -v239
	v_fma_f32 v12, v39, s18, -v250
	v_mul_f32_e32 v151, 0x3f3d2fb0, v38
	v_mul_f32_e32 v157, 0x3f3d2fb0, v40
	v_add_f32_e32 v85, v94, v85
	v_add_f32_e32 v84, v107, v84
	;; [unrolled: 1-line block ×4, first 2 shown]
	v_sub_f32_e32 v51, v149, v51
	v_add_f32_e32 v6, v7, v6
	v_fma_f32 v7, v52, s18, -v208
	v_add_f32_e32 v8, v9, v8
	v_fma_f32 v9, v52, s7, -v224
	;; [unrolled: 2-line block ×4, first 2 shown]
	v_mul_f32_e32 v159, 0x3dbcf732, v40
	v_mul_f32_e32 v165, 0x3ee437d1, v42
	v_add_f32_e32 v85, v84, v85
	v_sub_f32_e32 v84, v151, v86
	v_add_f32_e32 v56, v56, v53
	v_add_f32_e32 v51, v51, v4
	v_sub_f32_e32 v53, v157, v55
	v_add_f32_e32 v6, v7, v6
	v_fma_f32 v7, v57, s15, -v209
	v_fmac_f32_e32 v210, 0xbf7ba420, v38
	v_add_f32_e32 v8, v9, v8
	v_fma_f32 v9, v57, s18, -v225
	v_fmac_f32_e32 v226, 0xbf59a7d5, v38
	v_add_f32_e32 v10, v11, v10
	v_fma_f32 v11, v57, s14, -v241
	v_fmac_f32_e32 v242, 0xbf1a4643, v38
	v_add_f32_e32 v5, v12, v5
	v_fma_f32 v12, v43, s7, -v251
	v_fmac_f32_e32 v64, 0xbe8c1d8e, v38
	v_mul_f32_e32 v167, 0xbf1a4643, v42
	v_mul_f32_e32 v173, 0x3dbcf732, v44
	v_add_f32_e32 v84, v84, v4
	v_sub_f32_e32 v86, v159, v87
	v_add_f32_e32 v51, v53, v51
	v_sub_f32_e32 v53, v165, v58
	v_add_f32_e32 v7, v7, v6
	v_add_f32_e32 v6, v210, v4
	v_fmac_f32_e32 v211, 0x3f6eb680, v40
	v_add_f32_e32 v9, v9, v8
	v_add_f32_e32 v8, v226, v4
	v_fmac_f32_e32 v227, 0x3ee437d1, v40
	;; [unrolled: 3-line block ×3, first 2 shown]
	v_add_f32_e32 v5, v12, v5
	v_fma_f32 v12, v45, s14, -v252
	v_add_f32_e32 v4, v64, v4
	v_fmac_f32_e32 v253, 0xbf59a7d5, v40
	v_mul_f32_e32 v175, 0xbf7ba420, v44
	v_mul_f32_e32 v181, 0xbe8c1d8e, v46
	v_add_f32_e32 v84, v86, v84
	v_sub_f32_e32 v86, v167, v88
	v_add_f32_e32 v51, v53, v51
	v_sub_f32_e32 v53, v173, v60
	v_add_f32_e32 v6, v211, v6
	v_fmac_f32_e32 v212, 0xbf59a7d5, v42
	v_add_f32_e32 v8, v227, v8
	v_fmac_f32_e32 v228, 0x3dbcf732, v42
	v_add_f32_e32 v10, v243, v10
	v_fmac_f32_e32 v244, 0x3f6eb680, v42
	v_add_f32_e32 v5, v12, v5
	v_fma_f32 v12, v47, s17, -v93
	v_add_f32_e32 v4, v253, v4
	v_fmac_f32_e32 v74, 0x3f3d2fb0, v42
	v_mul_f32_e32 v183, 0xbf59a7d5, v46
	v_mul_f32_e32 v189, 0xbf1a4643, v48
	v_add_f32_e32 v84, v86, v84
	v_sub_f32_e32 v86, v175, v89
	v_add_f32_e32 v51, v53, v51
	v_sub_f32_e32 v53, v181, v62
	v_add_f32_e32 v6, v212, v6
	v_fmac_f32_e32 v213, 0x3f3d2fb0, v44
	v_add_f32_e32 v8, v228, v8
	v_fmac_f32_e32 v229, 0xbf1a4643, v44
	v_add_f32_e32 v10, v244, v10
	v_fmac_f32_e32 v245, 0xbf59a7d5, v44
	;; [unrolled: 16-line block ×4, first 2 shown]
	v_add_f32_e32 v5, v12, v5
	v_fma_f32 v12, v57, s16, -v118
	v_add_f32_e32 v4, v255, v4
	v_fmac_f32_e32 v97, 0x3dbcf732, v48
	v_mul_f32_e32 v137, 0x3f6eb680, v54
	v_add_f32_e32 v84, v86, v84
	v_sub_f32_e32 v86, v199, v99
	v_add_f32_e32 v51, v53, v51
	v_sub_f32_e32 v53, v134, v75
	v_add_f32_e32 v6, v215, v6
	v_fmac_f32_e32 v216, 0xbe8c1d8e, v50
	v_add_f32_e32 v8, v231, v8
	v_fmac_f32_e32 v232, 0x3f3d2fb0, v50
	;; [unrolled: 2-line block ×3, first 2 shown]
	v_add_f32_e32 v5, v12, v5
	v_add_f32_e32 v4, v97, v4
	v_fmac_f32_e32 v106, 0x3f6eb680, v50
	v_mul_lo_u16_e32 v12, 17, v92
	v_add_f32_e32 v84, v86, v84
	v_sub_f32_e32 v86, v137, v101
	v_add_f32_e32 v55, v53, v51
	v_add_f32_e32 v6, v216, v6
	v_fmac_f32_e32 v217, 0x3dbcf732, v54
	v_add_f32_e32 v8, v232, v8
	v_fmac_f32_e32 v233, 0xbe8c1d8e, v54
	;; [unrolled: 2-line block ×4, first 2 shown]
	v_lshlrev_b32_e32 v12, 3, v12
	v_add_f32_e32 v84, v86, v84
	v_add_f32_e32 v6, v217, v6
	;; [unrolled: 1-line block ×5, first 2 shown]
	ds_write2_b64 v12, v[0:1], v[55:56] offset1:1
	ds_write2_b64 v12, v[84:85], v[81:82] offset0:2 offset1:3
	ds_write2_b64 v12, v[67:68], v[147:148] offset0:4 offset1:5
	;; [unrolled: 1-line block ×7, first 2 shown]
	ds_write_b64 v12, v[77:78] offset:128
.LBB0_7:
	s_or_b64 exec, exec, s[4:5]
	s_load_dwordx4 s[4:7], s[2:3], 0x0
	s_movk_i32 s2, 0xf1
	v_mul_lo_u16_sdwa v0, v92, s2 dst_sel:DWORD dst_unused:UNUSED_PAD src0_sel:BYTE_0 src1_sel:DWORD
	v_lshrrev_b16_e32 v4, 12, v0
	v_mul_lo_u16_e32 v0, 17, v4
	v_sub_u16_e32 v0, v92, v0
	v_and_b32_e32 v5, 0xff, v0
	v_mul_u32_u24_e32 v0, 12, v5
	v_lshlrev_b32_e32 v0, 3, v0
	s_waitcnt lgkmcnt(0)
	; wave barrier
	s_waitcnt lgkmcnt(0)
	global_load_dwordx4 v[24:27], v0, s[12:13]
	global_load_dwordx4 v[16:19], v0, s[12:13] offset:16
	global_load_dwordx4 v[12:15], v0, s[12:13] offset:32
	;; [unrolled: 1-line block ×5, first 2 shown]
	ds_read2_b64 v[32:35], v91 offset1:51
	ds_read2_b64 v[36:39], v91 offset0:102 offset1:153
	ds_read2_b64 v[40:43], v91 offset0:204 offset1:255
	v_add_u32_e32 v81, 0x800, v91
	v_add_u32_e32 v6, 0xc00, v91
	ds_read_b64 v[0:1], v91 offset:4896
	ds_read2_b64 v[44:47], v81 offset0:50 offset1:101
	ds_read2_b64 v[48:51], v81 offset0:152 offset1:203
	;; [unrolled: 1-line block ×3, first 2 shown]
	s_mov_b32 s14, 0x3f62ad3f
	s_mov_b32 s3, 0x3f116cb1
	;; [unrolled: 1-line block ×6, first 2 shown]
	v_mul_u32_u24_e32 v4, 0xdd, v4
	v_add_lshl_u32 v93, v4, v5, 3
	s_waitcnt lgkmcnt(0)
	; wave barrier
	s_waitcnt vmcnt(5) lgkmcnt(0)
	v_mul_f32_e32 v6, v35, v25
	v_mul_f32_e32 v7, v34, v25
	;; [unrolled: 1-line block ×4, first 2 shown]
	s_waitcnt vmcnt(4)
	v_mul_f32_e32 v58, v39, v17
	s_waitcnt vmcnt(3)
	v_mul_f32_e32 v64, v45, v15
	s_waitcnt vmcnt(0)
	v_mul_f32_e32 v84, v1, v23
	v_mul_f32_e32 v85, v0, v23
	v_fma_f32 v6, v34, v24, -v6
	v_fmac_f32_e32 v7, v35, v24
	v_mul_f32_e32 v59, v38, v17
	v_mul_f32_e32 v65, v44, v15
	;; [unrolled: 1-line block ×3, first 2 shown]
	v_fma_f32 v34, v36, v26, -v56
	v_fmac_f32_e32 v57, v37, v26
	v_fma_f32 v35, v38, v16, -v58
	v_fma_f32 v38, v44, v14, -v64
	;; [unrolled: 1-line block ×3, first 2 shown]
	v_fmac_f32_e32 v85, v1, v22
	v_add_f32_e32 v1, v32, v6
	v_add_f32_e32 v44, v33, v7
	v_mul_f32_e32 v60, v41, v19
	v_mul_f32_e32 v61, v40, v19
	;; [unrolled: 1-line block ×3, first 2 shown]
	v_fmac_f32_e32 v59, v39, v16
	v_fmac_f32_e32 v65, v45, v14
	;; [unrolled: 1-line block ×3, first 2 shown]
	v_add_f32_e32 v45, v6, v0
	v_sub_f32_e32 v47, v6, v0
	v_add_f32_e32 v1, v1, v34
	v_add_f32_e32 v6, v44, v57
	v_mul_f32_e32 v62, v43, v13
	v_mul_f32_e32 v63, v42, v13
	v_fma_f32 v36, v40, v18, -v60
	v_fmac_f32_e32 v61, v41, v18
	v_add_f32_e32 v1, v1, v35
	v_add_f32_e32 v6, v6, v59
	v_fma_f32 v37, v42, v12, -v62
	v_fmac_f32_e32 v63, v43, v12
	v_add_f32_e32 v1, v1, v36
	v_add_f32_e32 v6, v6, v61
	v_add_f32_e32 v1, v1, v37
	v_add_f32_e32 v6, v6, v63
	v_mul_f32_e32 v68, v49, v11
	v_mul_f32_e32 v69, v48, v11
	v_fma_f32 v39, v46, v8, -v66
	v_add_f32_e32 v1, v1, v38
	v_add_f32_e32 v6, v6, v65
	v_mul_f32_e32 v70, v51, v29
	v_mul_f32_e32 v71, v50, v29
	v_fma_f32 v40, v48, v10, -v68
	v_fmac_f32_e32 v69, v49, v10
	v_add_f32_e32 v1, v1, v39
	v_add_f32_e32 v6, v6, v67
	v_mul_f32_e32 v74, v53, v31
	v_mul_f32_e32 v75, v52, v31
	v_fma_f32 v41, v50, v28, -v70
	v_fmac_f32_e32 v71, v51, v28
	;; [unrolled: 6-line block ×3, first 2 shown]
	v_add_f32_e32 v1, v1, v41
	v_add_f32_e32 v6, v6, v71
	v_fma_f32 v43, v54, v20, -v82
	v_fmac_f32_e32 v83, v55, v20
	v_add_f32_e32 v1, v1, v42
	v_add_f32_e32 v6, v6, v75
	;; [unrolled: 1-line block ×3, first 2 shown]
	v_sub_f32_e32 v48, v7, v85
	v_add_f32_e32 v1, v1, v43
	v_add_f32_e32 v7, v6, v83
	v_mul_f32_e32 v44, 0xbeedf032, v47
	v_mul_f32_e32 v52, 0xbf52af12, v47
	;; [unrolled: 1-line block ×6, first 2 shown]
	v_add_f32_e32 v6, v1, v0
	v_add_f32_e32 v7, v7, v85
	v_mul_f32_e32 v0, 0xbeedf032, v48
	v_mov_b32_e32 v49, v44
	v_mul_f32_e32 v50, 0xbf52af12, v48
	v_mov_b32_e32 v53, v52
	;; [unrolled: 2-line block ×6, first 2 shown]
	v_fma_f32 v1, v45, s14, -v0
	v_fmac_f32_e32 v49, 0x3f62ad3f, v46
	v_fmac_f32_e32 v0, 0x3f62ad3f, v45
	v_fma_f32 v44, v46, s14, -v44
	v_fma_f32 v51, v45, s3, -v50
	v_fmac_f32_e32 v53, 0x3f116cb1, v46
	v_fmac_f32_e32 v50, 0x3f116cb1, v45
	v_fma_f32 v52, v46, s3, -v52
	;; [unrolled: 4-line block ×6, first 2 shown]
	v_add_f32_e32 v49, v33, v49
	v_add_f32_e32 v44, v33, v44
	;; [unrolled: 1-line block ×13, first 2 shown]
	v_sub_f32_e32 v34, v34, v43
	v_sub_f32_e32 v43, v57, v83
	v_mul_f32_e32 v47, 0xbf52af12, v43
	v_add_f32_e32 v1, v32, v1
	v_add_f32_e32 v0, v32, v0
	;; [unrolled: 1-line block ×12, first 2 shown]
	v_fma_f32 v48, v45, s3, -v47
	v_add_f32_e32 v46, v57, v83
	v_add_f32_e32 v1, v48, v1
	v_mul_f32_e32 v48, 0xbf52af12, v34
	v_fmac_f32_e32 v47, 0x3f116cb1, v45
	v_add_f32_e32 v0, v47, v0
	v_fma_f32 v47, v46, s3, -v48
	v_add_f32_e32 v44, v47, v44
	v_mul_f32_e32 v47, 0xbf6f5d39, v43
	v_mov_b32_e32 v57, v48
	v_fma_f32 v48, v45, s15, -v47
	v_fmac_f32_e32 v57, 0x3f116cb1, v46
	v_add_f32_e32 v48, v48, v51
	v_mul_f32_e32 v51, 0xbf6f5d39, v34
	v_fmac_f32_e32 v47, 0xbeb58ec6, v45
	v_add_f32_e32 v49, v57, v49
	v_mov_b32_e32 v57, v51
	v_add_f32_e32 v47, v47, v50
	v_fma_f32 v50, v46, s15, -v51
	v_mul_f32_e32 v51, 0xbe750f2a, v43
	v_add_f32_e32 v50, v50, v52
	v_fma_f32 v52, v45, s17, -v51
	v_fmac_f32_e32 v57, 0xbeb58ec6, v46
	v_add_f32_e32 v52, v52, v55
	v_mul_f32_e32 v55, 0xbe750f2a, v34
	v_add_f32_e32 v53, v57, v53
	v_mov_b32_e32 v57, v55
	v_fmac_f32_e32 v51, 0xbf788fa5, v45
	v_fmac_f32_e32 v57, 0xbf788fa5, v46
	v_add_f32_e32 v51, v51, v54
	v_fma_f32 v54, v46, s17, -v55
	v_mul_f32_e32 v55, 0x3f29c268, v43
	v_add_f32_e32 v57, v57, v58
	v_add_f32_e32 v54, v54, v56
	v_fma_f32 v56, v45, s16, -v55
	v_mul_f32_e32 v58, 0x3f29c268, v34
	v_add_f32_e32 v56, v56, v62
	v_mov_b32_e32 v62, v58
	v_fmac_f32_e32 v55, 0xbf3f9e67, v45
	v_fmac_f32_e32 v62, 0xbf3f9e67, v46
	v_add_f32_e32 v55, v55, v60
	v_fma_f32 v58, v46, s16, -v58
	v_mul_f32_e32 v60, 0x3f7e222b, v43
	v_add_f32_e32 v62, v62, v66
	v_add_f32_e32 v58, v58, v64
	v_fma_f32 v64, v45, s2, -v60
	v_mul_f32_e32 v66, 0x3f7e222b, v34
	v_add_f32_e32 v64, v64, v70
	v_mov_b32_e32 v70, v66
	v_fma_f32 v66, v46, s2, -v66
	v_mul_f32_e32 v34, 0x3eedf032, v34
	v_add_f32_e32 v66, v66, v74
	v_mov_b32_e32 v74, v34
	v_fma_f32 v34, v46, s14, -v34
	v_fmac_f32_e32 v60, 0x3df6dbef, v45
	v_mul_f32_e32 v43, 0x3eedf032, v43
	v_add_f32_e32 v33, v34, v33
	v_add_f32_e32 v34, v35, v42
	v_sub_f32_e32 v35, v35, v42
	v_sub_f32_e32 v42, v59, v75
	v_add_f32_e32 v60, v60, v68
	v_fma_f32 v68, v45, s14, -v43
	v_fmac_f32_e32 v43, 0x3f62ad3f, v45
	v_mul_f32_e32 v45, 0xbf7e222b, v42
	v_fmac_f32_e32 v70, 0x3df6dbef, v46
	v_fmac_f32_e32 v74, 0x3f62ad3f, v46
	v_fma_f32 v46, v34, s2, -v45
	v_add_f32_e32 v32, v43, v32
	v_add_f32_e32 v43, v59, v75
	;; [unrolled: 1-line block ×3, first 2 shown]
	v_mul_f32_e32 v46, 0xbf7e222b, v35
	v_fmac_f32_e32 v45, 0x3df6dbef, v34
	v_add_f32_e32 v0, v45, v0
	v_fma_f32 v45, v43, s2, -v46
	v_add_f32_e32 v44, v45, v44
	v_mul_f32_e32 v45, 0xbe750f2a, v42
	v_mov_b32_e32 v59, v46
	v_fma_f32 v46, v34, s17, -v45
	v_fmac_f32_e32 v59, 0x3df6dbef, v43
	v_add_f32_e32 v46, v46, v48
	v_mul_f32_e32 v48, 0xbe750f2a, v35
	v_fmac_f32_e32 v45, 0xbf788fa5, v34
	v_add_f32_e32 v49, v59, v49
	v_mov_b32_e32 v59, v48
	v_add_f32_e32 v45, v45, v47
	v_fma_f32 v47, v43, s17, -v48
	v_mul_f32_e32 v48, 0x3f6f5d39, v42
	v_add_f32_e32 v47, v47, v50
	v_fma_f32 v50, v34, s15, -v48
	v_fmac_f32_e32 v59, 0xbf788fa5, v43
	v_add_f32_e32 v50, v50, v52
	v_mul_f32_e32 v52, 0x3f6f5d39, v35
	v_fmac_f32_e32 v48, 0xbeb58ec6, v34
	v_add_f32_e32 v53, v59, v53
	v_mov_b32_e32 v59, v52
	v_add_f32_e32 v48, v48, v51
	v_fma_f32 v51, v43, s15, -v52
	v_mul_f32_e32 v52, 0x3eedf032, v42
	v_add_f32_e32 v51, v51, v54
	v_fma_f32 v54, v34, s14, -v52
	v_fmac_f32_e32 v59, 0xbeb58ec6, v43
	v_add_f32_e32 v54, v54, v56
	v_mul_f32_e32 v56, 0x3eedf032, v35
	v_add_f32_e32 v57, v59, v57
	v_mov_b32_e32 v59, v56
	v_fmac_f32_e32 v52, 0x3f62ad3f, v34
	v_fmac_f32_e32 v59, 0x3f62ad3f, v43
	v_add_f32_e32 v52, v52, v55
	v_fma_f32 v55, v43, s14, -v56
	v_mul_f32_e32 v56, 0xbf52af12, v42
	v_add_f32_e32 v59, v59, v62
	v_add_f32_e32 v55, v55, v58
	v_fma_f32 v58, v34, s3, -v56
	v_mul_f32_e32 v62, 0xbf52af12, v35
	v_fmac_f32_e32 v56, 0x3f116cb1, v34
	v_mul_f32_e32 v42, 0xbf29c268, v42
	v_mul_f32_e32 v35, 0xbf29c268, v35
	v_add_f32_e32 v58, v58, v64
	v_mov_b32_e32 v64, v62
	v_add_f32_e32 v56, v56, v60
	v_fma_f32 v60, v43, s3, -v62
	v_fma_f32 v62, v34, s16, -v42
	v_fmac_f32_e32 v42, 0xbf3f9e67, v34
	v_fma_f32 v34, v43, s16, -v35
	v_add_f32_e32 v33, v34, v33
	v_add_f32_e32 v34, v36, v41
	v_sub_f32_e32 v36, v36, v41
	v_sub_f32_e32 v41, v61, v71
	v_add_f32_e32 v60, v60, v66
	v_mov_b32_e32 v66, v35
	v_add_f32_e32 v32, v42, v32
	v_mul_f32_e32 v42, 0xbf6f5d39, v41
	v_fmac_f32_e32 v64, 0x3f116cb1, v43
	v_fmac_f32_e32 v66, 0xbf3f9e67, v43
	v_fma_f32 v43, v34, s15, -v42
	v_add_f32_e32 v35, v61, v71
	v_add_f32_e32 v1, v43, v1
	v_mul_f32_e32 v43, 0xbf6f5d39, v36
	v_fmac_f32_e32 v42, 0xbeb58ec6, v34
	v_mov_b32_e32 v61, v43
	v_add_f32_e32 v0, v42, v0
	v_fma_f32 v42, v35, s15, -v43
	v_mul_f32_e32 v43, 0x3f29c268, v41
	v_add_f32_e32 v42, v42, v44
	v_fma_f32 v44, v34, s16, -v43
	v_fmac_f32_e32 v61, 0xbeb58ec6, v35
	v_add_f32_e32 v44, v44, v46
	v_mul_f32_e32 v46, 0x3f29c268, v36
	v_fmac_f32_e32 v43, 0xbf3f9e67, v34
	v_add_f32_e32 v49, v61, v49
	v_mov_b32_e32 v61, v46
	v_add_f32_e32 v43, v43, v45
	v_fma_f32 v45, v35, s16, -v46
	v_mul_f32_e32 v46, 0x3eedf032, v41
	v_add_f32_e32 v45, v45, v47
	v_fma_f32 v47, v34, s14, -v46
	v_fmac_f32_e32 v61, 0xbf3f9e67, v35
	v_add_f32_e32 v47, v47, v50
	v_mul_f32_e32 v50, 0x3eedf032, v36
	v_fmac_f32_e32 v46, 0x3f62ad3f, v34
	v_add_f32_e32 v53, v61, v53
	;; [unrolled: 11-line block ×3, first 2 shown]
	v_mov_b32_e32 v61, v54
	v_add_f32_e32 v50, v50, v52
	v_fma_f32 v52, v35, s2, -v54
	v_mul_f32_e32 v54, 0x3e750f2a, v41
	v_add_f32_e32 v52, v52, v55
	v_fma_f32 v55, v34, s17, -v54
	v_fmac_f32_e32 v61, 0x3df6dbef, v35
	v_add_f32_e32 v55, v55, v58
	v_mul_f32_e32 v58, 0x3e750f2a, v36
	v_fmac_f32_e32 v54, 0xbf788fa5, v34
	v_mul_f32_e32 v41, 0x3f52af12, v41
	v_mul_f32_e32 v36, 0x3f52af12, v36
	v_add_f32_e32 v59, v61, v59
	v_mov_b32_e32 v61, v58
	v_add_f32_e32 v54, v54, v56
	v_fma_f32 v56, v35, s17, -v58
	v_fma_f32 v58, v34, s3, -v41
	v_fmac_f32_e32 v41, 0x3f116cb1, v34
	v_fma_f32 v34, v35, s3, -v36
	v_add_f32_e32 v56, v56, v60
	v_mov_b32_e32 v60, v36
	v_add_f32_e32 v33, v34, v33
	v_add_f32_e32 v34, v37, v40
	v_sub_f32_e32 v36, v37, v40
	v_sub_f32_e32 v37, v63, v69
	v_mul_f32_e32 v40, 0xbf29c268, v37
	v_add_f32_e32 v68, v68, v84
	v_add_f32_e32 v32, v41, v32
	v_fma_f32 v41, v34, s16, -v40
	v_add_f32_e32 v62, v62, v68
	v_fmac_f32_e32 v61, 0xbf788fa5, v35
	v_fmac_f32_e32 v60, 0x3f116cb1, v35
	v_add_f32_e32 v35, v63, v69
	v_add_f32_e32 v1, v41, v1
	v_mul_f32_e32 v41, 0xbf29c268, v36
	v_fmac_f32_e32 v40, 0xbf3f9e67, v34
	v_add_f32_e32 v58, v58, v62
	v_mov_b32_e32 v62, v41
	v_add_f32_e32 v0, v40, v0
	v_fma_f32 v40, v35, s16, -v41
	v_mul_f32_e32 v41, 0x3f7e222b, v37
	v_add_f32_e32 v40, v40, v42
	v_fma_f32 v42, v34, s2, -v41
	v_fmac_f32_e32 v62, 0xbf3f9e67, v35
	v_add_f32_e32 v42, v42, v44
	v_mul_f32_e32 v44, 0x3f7e222b, v36
	v_fmac_f32_e32 v41, 0x3df6dbef, v34
	v_add_f32_e32 v49, v62, v49
	v_mov_b32_e32 v62, v44
	v_add_f32_e32 v41, v41, v43
	v_fma_f32 v43, v35, s2, -v44
	v_mul_f32_e32 v44, 0xbf52af12, v37
	v_add_f32_e32 v43, v43, v45
	v_fma_f32 v45, v34, s3, -v44
	v_fmac_f32_e32 v62, 0x3df6dbef, v35
	;; [unrolled: 11-line block ×3, first 2 shown]
	v_add_f32_e32 v48, v48, v51
	v_mul_f32_e32 v51, 0x3e750f2a, v36
	v_fmac_f32_e32 v47, 0xbf788fa5, v34
	v_add_f32_e32 v57, v62, v57
	v_mov_b32_e32 v62, v51
	v_add_f32_e32 v47, v47, v50
	v_fma_f32 v50, v35, s17, -v51
	v_mul_f32_e32 v51, 0x3eedf032, v37
	v_add_f32_e32 v50, v50, v52
	v_fma_f32 v52, v34, s14, -v51
	v_add_f32_e32 v70, v70, v82
	v_fmac_f32_e32 v62, 0xbf788fa5, v35
	v_add_f32_e32 v52, v52, v55
	v_mul_f32_e32 v55, 0x3eedf032, v36
	v_fmac_f32_e32 v51, 0x3f62ad3f, v34
	v_add_f32_e32 v74, v74, v85
	v_add_f32_e32 v64, v64, v70
	;; [unrolled: 1-line block ×3, first 2 shown]
	v_mov_b32_e32 v62, v55
	v_add_f32_e32 v51, v51, v54
	v_fma_f32 v54, v35, s14, -v55
	v_mul_f32_e32 v37, 0xbf6f5d39, v37
	v_mul_f32_e32 v36, 0xbf6f5d39, v36
	v_add_f32_e32 v66, v66, v74
	v_add_f32_e32 v61, v61, v64
	v_fmac_f32_e32 v62, 0x3f62ad3f, v35
	v_add_f32_e32 v54, v54, v56
	v_fma_f32 v55, v34, s15, -v37
	v_mov_b32_e32 v56, v36
	v_fmac_f32_e32 v37, 0xbeb58ec6, v34
	v_add_f32_e32 v63, v65, v67
	v_sub_f32_e32 v65, v65, v67
	v_add_f32_e32 v60, v60, v66
	v_add_f32_e32 v61, v62, v61
	;; [unrolled: 1-line block ×3, first 2 shown]
	v_fmac_f32_e32 v56, 0xbeb58ec6, v35
	v_add_f32_e32 v58, v37, v32
	v_fma_f32 v32, v35, s15, -v36
	v_add_f32_e32 v62, v38, v39
	v_mul_f32_e32 v34, 0xbe750f2a, v65
	v_add_f32_e32 v56, v56, v60
	v_add_f32_e32 v60, v32, v33
	v_sub_f32_e32 v64, v38, v39
	v_fma_f32 v32, v62, s17, -v34
	v_add_f32_e32 v32, v32, v1
	v_mul_f32_e32 v1, 0xbe750f2a, v64
	v_mov_b32_e32 v33, v1
	v_fma_f32 v1, v63, s17, -v1
	v_add_f32_e32 v1, v1, v40
	v_mul_f32_e32 v40, 0xbf29c268, v65
	v_fmac_f32_e32 v34, 0xbf788fa5, v62
	v_mul_f32_e32 v36, 0x3eedf032, v65
	v_fma_f32 v38, v62, s16, -v40
	v_fmac_f32_e32 v40, 0xbf3f9e67, v62
	v_add_f32_e32 v0, v34, v0
	v_fma_f32 v34, v62, s14, -v36
	v_mul_f32_e32 v37, 0x3eedf032, v64
	v_fmac_f32_e32 v36, 0x3f62ad3f, v62
	v_add_f32_e32 v40, v40, v44
	v_mul_f32_e32 v44, 0x3f52af12, v65
	v_add_f32_e32 v34, v34, v42
	v_mov_b32_e32 v35, v37
	v_add_f32_e32 v36, v36, v41
	v_mul_f32_e32 v41, 0xbf29c268, v64
	v_fma_f32 v42, v62, s3, -v44
	v_fmac_f32_e32 v35, 0x3f62ad3f, v63
	v_mov_b32_e32 v39, v41
	v_fma_f32 v41, v63, s16, -v41
	v_add_f32_e32 v42, v42, v48
	v_mul_f32_e32 v48, 0xbf6f5d39, v65
	v_fmac_f32_e32 v33, 0xbf788fa5, v63
	v_add_f32_e32 v35, v35, v53
	v_fma_f32 v37, v63, s14, -v37
	v_add_f32_e32 v38, v38, v45
	v_add_f32_e32 v41, v41, v46
	v_mul_f32_e32 v45, 0x3f52af12, v64
	v_fma_f32 v46, v62, s15, -v48
	v_fmac_f32_e32 v48, 0xbeb58ec6, v62
	v_mul_f32_e32 v53, 0x3f7e222b, v64
	v_add_f32_e32 v33, v33, v49
	v_add_f32_e32 v37, v37, v43
	v_mov_b32_e32 v43, v45
	v_fmac_f32_e32 v44, 0x3f116cb1, v62
	v_fma_f32 v45, v63, s3, -v45
	v_add_f32_e32 v46, v46, v52
	v_mul_f32_e32 v49, 0xbf6f5d39, v64
	v_add_f32_e32 v48, v48, v51
	v_mul_f32_e32 v52, 0x3f7e222b, v65
	v_mov_b32_e32 v51, v53
	v_add_f32_e32 v44, v44, v47
	v_add_f32_e32 v45, v45, v50
	v_mov_b32_e32 v47, v49
	v_fma_f32 v49, v63, s15, -v49
	v_fma_f32 v50, v62, s2, -v52
	v_fmac_f32_e32 v51, 0x3df6dbef, v63
	v_fmac_f32_e32 v52, 0x3df6dbef, v62
	v_fma_f32 v53, v63, s2, -v53
	v_fmac_f32_e32 v39, 0xbf3f9e67, v63
	v_fmac_f32_e32 v43, 0x3f116cb1, v63
	;; [unrolled: 1-line block ×3, first 2 shown]
	v_add_f32_e32 v49, v49, v54
	v_add_f32_e32 v50, v50, v55
	;; [unrolled: 1-line block ×5, first 2 shown]
	v_add_u32_e32 v83, 0x400, v91
	v_add_f32_e32 v39, v39, v57
	v_add_f32_e32 v43, v43, v59
	;; [unrolled: 1-line block ×3, first 2 shown]
	ds_write2_b64 v93, v[6:7], v[32:33] offset1:17
	ds_write2_b64 v93, v[34:35], v[38:39] offset0:34 offset1:51
	ds_write2_b64 v93, v[42:43], v[46:47] offset0:68 offset1:85
	;; [unrolled: 1-line block ×5, first 2 shown]
	ds_write_b64 v93, v[0:1] offset:1632
	s_waitcnt lgkmcnt(0)
	; wave barrier
	s_waitcnt lgkmcnt(0)
	ds_read2_b64 v[52:55], v91 offset1:51
	ds_read2_b64 v[48:51], v83 offset0:93 offset1:144
	ds_read2_b64 v[64:67], v81 offset0:186 offset1:237
	ds_read2_b64 v[56:59], v91 offset0:102 offset1:153
	ds_read2_b64 v[60:63], v81 offset0:67 offset1:118
	v_add_u32_e32 v82, 0x1000, v91
	ds_read2_b64 v[68:71], v82 offset0:32 offset1:83
	v_cmp_gt_u16_e64 s[2:3], 17, v92
	s_and_saveexec_b64 s[14:15], s[2:3]
	s_cbranch_execz .LBB0_9
; %bb.8:
	v_add_u32_e32 v0, 0x600, v91
	ds_read2_b64 v[0:3], v0 offset0:12 offset1:233
	ds_read_b64 v[72:73], v91 offset:5168
.LBB0_9:
	s_or_b64 exec, exec, s[14:15]
	v_lshlrev_b32_e32 v4, 4, v92
	v_add_u32_e32 v5, 0x330, v4
	global_load_dwordx4 v[32:35], v4, s[12:13] offset:1632
	global_load_dwordx4 v[36:39], v5, s[12:13] offset:1632
	v_add_u32_e32 v5, 0x660, v4
	v_add_u32_e32 v4, 0x990, v4
	global_load_dwordx4 v[40:43], v5, s[12:13] offset:1632
	global_load_dwordx4 v[44:47], v4, s[12:13] offset:1632
	v_add_co_u32_e32 v4, vcc, 0xcc, v92
	s_movk_i32 s16, 0xffef
	v_addc_co_u32_e64 v5, s[14:15], 0, 0, vcc
	v_add_co_u32_e32 v7, vcc, s16, v92
	v_addc_co_u32_e64 v74, s[14:15], 0, -1, vcc
	v_cndmask_b32_e64 v5, v74, v5, s[2:3]
	v_cndmask_b32_e64 v4, v7, v4, s[2:3]
	v_lshlrev_b64 v[4:5], 4, v[4:5]
	v_mov_b32_e32 v6, s13
	v_add_co_u32_e32 v4, vcc, s12, v4
	v_addc_co_u32_e32 v5, vcc, v6, v5, vcc
	global_load_dwordx4 v[4:7], v[4:5], off offset:1632
	s_waitcnt vmcnt(4) lgkmcnt(4)
	v_mul_f32_e32 v74, v49, v33
	v_mul_f32_e32 v75, v48, v33
	s_waitcnt lgkmcnt(3)
	v_mul_f32_e32 v84, v65, v35
	v_mul_f32_e32 v85, v64, v35
	v_fma_f32 v48, v48, v32, -v74
	v_fmac_f32_e32 v75, v49, v32
	v_fma_f32 v49, v64, v34, -v84
	v_fmac_f32_e32 v85, v65, v34
	s_waitcnt vmcnt(3)
	v_mul_f32_e32 v64, v51, v37
	v_mul_f32_e32 v74, v67, v39
	v_mul_f32_e32 v84, v66, v39
	s_waitcnt vmcnt(2) lgkmcnt(1)
	v_mul_f32_e32 v86, v61, v41
	v_mul_f32_e32 v87, v60, v41
	s_waitcnt vmcnt(1)
	v_mul_f32_e32 v90, v63, v45
	v_mul_f32_e32 v65, v50, v37
	s_waitcnt lgkmcnt(0)
	v_mul_f32_e32 v88, v69, v43
	v_mul_f32_e32 v94, v62, v45
	v_fma_f32 v64, v50, v36, -v64
	v_fma_f32 v66, v66, v38, -v74
	v_fmac_f32_e32 v84, v67, v38
	v_fma_f32 v67, v60, v40, -v86
	v_fmac_f32_e32 v87, v61, v40
	v_fma_f32 v86, v62, v44, -v90
	v_add_f32_e32 v50, v52, v48
	v_add_f32_e32 v61, v53, v75
	;; [unrolled: 1-line block ×3, first 2 shown]
	v_mul_f32_e32 v89, v68, v43
	v_fmac_f32_e32 v65, v51, v36
	v_fma_f32 v74, v68, v42, -v88
	v_add_f32_e32 v51, v48, v49
	v_sub_f32_e32 v68, v48, v49
	v_add_f32_e32 v48, v50, v49
	v_add_f32_e32 v49, v61, v85
	v_fma_f32 v61, -0.5, v62, v53
	v_add_f32_e32 v53, v64, v66
	v_fmac_f32_e32 v94, v63, v44
	v_sub_f32_e32 v63, v75, v85
	v_fma_f32 v60, -0.5, v51, v52
	v_add_f32_e32 v52, v54, v64
	v_fma_f32 v54, -0.5, v53, v54
	s_waitcnt vmcnt(0)
	v_mul_f32_e32 v75, v2, v5
	v_mul_f32_e32 v53, v73, v7
	v_mov_b32_e32 v50, v60
	v_add_f32_e32 v62, v52, v66
	v_mul_f32_e32 v52, v3, v5
	v_fmac_f32_e32 v75, v3, v4
	v_fma_f32 v3, v72, v6, -v53
	v_add_f32_e32 v53, v55, v65
	v_fmac_f32_e32 v60, 0xbf5db3d7, v63
	v_fmac_f32_e32 v50, 0x3f5db3d7, v63
	v_add_f32_e32 v63, v53, v84
	v_add_f32_e32 v53, v65, v84
	v_fmac_f32_e32 v89, v69, v42
	v_sub_f32_e32 v69, v65, v84
	v_mov_b32_e32 v51, v61
	v_fmac_f32_e32 v55, -0.5, v53
	v_add_f32_e32 v65, v67, v74
	v_fmac_f32_e32 v61, 0x3f5db3d7, v68
	v_fmac_f32_e32 v51, 0xbf5db3d7, v68
	v_sub_f32_e32 v64, v64, v66
	v_mov_b32_e32 v53, v55
	v_fma_f32 v68, -0.5, v65, v56
	v_fmac_f32_e32 v53, 0xbf5db3d7, v64
	v_fmac_f32_e32 v55, 0x3f5db3d7, v64
	v_add_f32_e32 v64, v56, v67
	v_sub_f32_e32 v56, v87, v89
	v_mov_b32_e32 v66, v68
	v_fmac_f32_e32 v66, 0x3f5db3d7, v56
	v_fmac_f32_e32 v68, 0xbf5db3d7, v56
	v_add_f32_e32 v56, v57, v87
	v_fma_f32 v2, v2, v4, -v52
	v_mov_b32_e32 v52, v54
	v_add_f32_e32 v65, v56, v89
	v_add_f32_e32 v56, v87, v89
	v_fmac_f32_e32 v52, 0x3f5db3d7, v69
	v_fmac_f32_e32 v54, 0xbf5db3d7, v69
	v_fma_f32 v69, -0.5, v56, v57
	v_mul_f32_e32 v95, v71, v47
	v_sub_f32_e32 v56, v67, v74
	v_mov_b32_e32 v67, v69
	v_fma_f32 v88, v70, v46, -v95
	v_fmac_f32_e32 v67, 0xbf5db3d7, v56
	v_fmac_f32_e32 v69, 0x3f5db3d7, v56
	v_add_f32_e32 v56, v58, v86
	v_mul_f32_e32 v96, v70, v47
	v_add_f32_e32 v70, v56, v88
	v_add_f32_e32 v56, v86, v88
	v_fmac_f32_e32 v96, v71, v46
	v_fma_f32 v58, -0.5, v56, v58
	v_sub_f32_e32 v57, v94, v96
	v_mov_b32_e32 v56, v58
	v_fmac_f32_e32 v56, 0x3f5db3d7, v57
	v_fmac_f32_e32 v58, 0xbf5db3d7, v57
	v_add_f32_e32 v57, v59, v94
	v_add_f32_e32 v71, v57, v96
	v_add_f32_e32 v57, v94, v96
	v_mul_f32_e32 v85, v72, v7
	v_fmac_f32_e32 v59, -0.5, v57
	v_fmac_f32_e32 v85, v73, v6
	v_sub_f32_e32 v72, v86, v88
	v_mov_b32_e32 v57, v59
	v_add_f32_e32 v73, v2, v3
	v_fmac_f32_e32 v57, 0xbf5db3d7, v72
	v_fmac_f32_e32 v59, 0x3f5db3d7, v72
	v_add_f32_e32 v72, v0, v2
	v_fmac_f32_e32 v0, -0.5, v73
	v_add_f32_e32 v64, v64, v74
	v_sub_f32_e32 v73, v75, v85
	v_mov_b32_e32 v74, v0
	v_fmac_f32_e32 v74, 0x3f5db3d7, v73
	v_fmac_f32_e32 v0, 0xbf5db3d7, v73
	v_add_f32_e32 v73, v1, v75
	v_add_f32_e32 v75, v75, v85
	v_fmac_f32_e32 v1, -0.5, v75
	v_sub_f32_e32 v2, v2, v3
	v_mov_b32_e32 v75, v1
	v_add_f32_e32 v72, v72, v3
	v_add_f32_e32 v73, v73, v85
	v_fmac_f32_e32 v75, 0xbf5db3d7, v2
	v_fmac_f32_e32 v1, 0x3f5db3d7, v2
	ds_write2_b64 v91, v[48:49], v[62:63] offset1:51
	ds_write2_b64 v83, v[50:51], v[52:53] offset0:93 offset1:144
	ds_write2_b64 v81, v[60:61], v[54:55] offset0:186 offset1:237
	;; [unrolled: 1-line block ×5, first 2 shown]
	s_and_saveexec_b64 s[12:13], s[2:3]
	s_cbranch_execz .LBB0_11
; %bb.10:
	v_add_u32_e32 v2, 0x600, v91
	ds_write2_b64 v2, v[72:73], v[74:75] offset0:12 offset1:233
	ds_write_b64 v91, v[0:1] offset:5168
.LBB0_11:
	s_or_b64 exec, exec, s[12:13]
	s_waitcnt lgkmcnt(0)
	; wave barrier
	s_waitcnt lgkmcnt(0)
	s_and_saveexec_b64 s[12:13], s[0:1]
	s_cbranch_execz .LBB0_13
; %bb.12:
	v_mov_b32_e32 v2, s9
	v_add_co_u32_e32 v85, vcc, s8, v91
	v_addc_co_u32_e32 v86, vcc, 0, v2, vcc
	v_add_co_u32_e32 v2, vcc, 0x14b8, v85
	v_addc_co_u32_e32 v3, vcc, 0, v86, vcc
	;; [unrolled: 2-line block ×3, first 2 shown]
	global_load_dwordx2 v[83:84], v[81:82], off offset:1208
	global_load_dwordx2 v[89:90], v[2:3], off offset:312
	;; [unrolled: 1-line block ×13, first 2 shown]
	s_movk_i32 s14, 0x2000
	v_add_co_u32_e32 v81, vcc, s14, v85
	v_addc_co_u32_e32 v82, vcc, 0, v86, vcc
	global_load_dwordx2 v[132:133], v[81:82], off offset:1480
	global_load_dwordx2 v[134:135], v[81:82], off offset:1792
	;; [unrolled: 1-line block ×4, first 2 shown]
	ds_read_b64 v[2:3], v91
	v_add_u32_e32 v140, 0x800, v91
	s_waitcnt vmcnt(16) lgkmcnt(0)
	v_mul_f32_e32 v81, v3, v84
	v_mul_f32_e32 v82, v2, v84
	v_fma_f32 v81, v2, v83, -v81
	v_fmac_f32_e32 v82, v3, v83
	ds_write_b64 v91, v[81:82]
	ds_read2_b64 v[81:84], v91 offset0:39 offset1:78
	ds_read2_b64 v[85:88], v91 offset0:117 offset1:156
	;; [unrolled: 1-line block ×6, first 2 shown]
	s_waitcnt vmcnt(15) lgkmcnt(5)
	v_mul_f32_e32 v2, v82, v90
	v_mul_f32_e32 v3, v81, v90
	s_waitcnt vmcnt(14)
	v_mul_f32_e32 v141, v84, v111
	v_mul_f32_e32 v90, v83, v111
	s_waitcnt vmcnt(13) lgkmcnt(4)
	v_mul_f32_e32 v142, v86, v113
	v_mul_f32_e32 v111, v85, v113
	s_waitcnt vmcnt(12)
	v_mul_f32_e32 v143, v88, v115
	v_mul_f32_e32 v113, v87, v115
	;; [unrolled: 6-line block ×5, first 2 shown]
	v_fma_f32 v2, v81, v89, -v2
	v_fmac_f32_e32 v3, v82, v89
	v_fma_f32 v89, v83, v110, -v141
	v_fmac_f32_e32 v90, v84, v110
	;; [unrolled: 2-line block ×10, first 2 shown]
	ds_write2_b64 v91, v[2:3], v[89:90] offset0:39 offset1:78
	ds_write2_b64 v91, v[110:111], v[112:113] offset0:117 offset1:156
	;; [unrolled: 1-line block ×5, first 2 shown]
	v_add_u32_e32 v89, 0xc00, v91
	ds_read2_b64 v[81:84], v89 offset0:123 offset1:162
	s_waitcnt vmcnt(5) lgkmcnt(6)
	v_mul_f32_e32 v2, v107, v129
	v_mul_f32_e32 v3, v106, v129
	s_waitcnt vmcnt(4)
	v_mul_f32_e32 v85, v109, v131
	v_mul_f32_e32 v86, v108, v131
	v_fma_f32 v2, v106, v128, -v2
	v_fmac_f32_e32 v3, v107, v128
	v_fma_f32 v85, v108, v130, -v85
	v_fmac_f32_e32 v86, v109, v130
	v_add_u32_e32 v90, 0x1000, v91
	ds_write2_b64 v140, v[2:3], v[85:86] offset0:173 offset1:212
	ds_read2_b64 v[85:88], v90 offset0:73 offset1:112
	s_waitcnt vmcnt(1) lgkmcnt(2)
	v_mul_f32_e32 v2, v82, v137
	v_mul_f32_e32 v3, v81, v137
	v_fma_f32 v2, v81, v136, -v2
	v_fmac_f32_e32 v3, v82, v136
	v_mul_f32_e32 v81, v84, v133
	v_mul_f32_e32 v82, v83, v133
	v_fma_f32 v81, v83, v132, -v81
	v_fmac_f32_e32 v82, v84, v132
	ds_write2_b64 v89, v[2:3], v[81:82] offset0:123 offset1:162
	s_waitcnt lgkmcnt(1)
	v_mul_f32_e32 v2, v86, v135
	v_mul_f32_e32 v3, v85, v135
	s_waitcnt vmcnt(0)
	v_mul_f32_e32 v81, v88, v139
	v_mul_f32_e32 v82, v87, v139
	v_fma_f32 v2, v85, v134, -v2
	v_fmac_f32_e32 v3, v86, v134
	v_fma_f32 v81, v87, v138, -v81
	v_fmac_f32_e32 v82, v88, v138
	ds_write2_b64 v90, v[2:3], v[81:82] offset0:73 offset1:112
.LBB0_13:
	s_or_b64 exec, exec, s[12:13]
	s_waitcnt lgkmcnt(0)
	; wave barrier
	s_waitcnt lgkmcnt(0)
	s_and_saveexec_b64 s[12:13], s[0:1]
	s_cbranch_execz .LBB0_15
; %bb.14:
	ds_read2_b64 v[48:51], v91 offset1:39
	ds_read2_b64 v[60:63], v91 offset0:78 offset1:117
	ds_read2_b64 v[52:55], v91 offset0:156 offset1:195
	v_add_u32_e32 v0, 0x400, v91
	v_add_u32_e32 v72, 0x800, v91
	ds_read2_b64 v[64:67], v0 offset0:106 offset1:145
	ds_read2_b64 v[68:71], v72 offset0:56 offset1:95
	;; [unrolled: 1-line block ×3, first 2 shown]
	v_add_u32_e32 v0, 0x1000, v91
	ds_read2_b64 v[0:3], v0 offset0:34 offset1:73
	ds_read2_b64 v[72:75], v72 offset0:212 offset1:251
	ds_read_b64 v[77:78], v91 offset:4992
	s_waitcnt lgkmcnt(2)
	v_mov_b32_e32 v79, v2
	v_mov_b32_e32 v80, v3
.LBB0_15:
	s_or_b64 exec, exec, s[12:13]
	s_waitcnt lgkmcnt(0)
	v_sub_f32_e32 v110, v51, v78
	v_add_f32_e32 v94, v77, v50
	v_add_f32_e32 v112, v78, v51
	s_mov_b32 s14, 0x3ee437d1
	v_mul_f32_e32 v124, 0xbf65296c, v110
	v_sub_f32_e32 v111, v61, v80
	v_mul_f32_e32 v126, 0x3ee437d1, v112
	v_fma_f32 v2, v94, s14, -v124
	v_add_f32_e32 v95, v79, v60
	v_add_f32_e32 v114, v80, v61
	s_mov_b32 s16, 0xbf1a4643
	v_mul_f32_e32 v127, 0xbf4c4adb, v111
	v_sub_f32_e32 v96, v50, v77
	v_add_f32_e32 v2, v48, v2
	v_mov_b32_e32 v3, v126
	v_mul_f32_e32 v129, 0xbf1a4643, v114
	v_fma_f32 v83, v95, s16, -v127
	v_fmac_f32_e32 v3, 0xbf65296c, v96
	s_mov_b32 s15, 0x3dbcf732
	v_mul_f32_e32 v131, 0xbf7ee86f, v110
	v_sub_f32_e32 v98, v60, v79
	v_add_f32_e32 v2, v83, v2
	v_mov_b32_e32 v83, v129
	v_add_f32_e32 v3, v49, v3
	v_mul_f32_e32 v134, 0x3dbcf732, v112
	v_fma_f32 v81, v94, s15, -v131
	v_fmac_f32_e32 v83, 0xbf4c4adb, v98
	s_mov_b32 s17, 0xbf7ba420
	v_mul_f32_e32 v135, 0xbe3c28d5, v111
	v_add_f32_e32 v81, v48, v81
	v_mov_b32_e32 v82, v134
	v_add_f32_e32 v3, v83, v3
	v_mul_f32_e32 v138, 0xbf7ba420, v114
	v_fma_f32 v83, v95, s17, -v135
	v_fmac_f32_e32 v82, 0xbf7ee86f, v96
	v_add_f32_e32 v81, v83, v81
	v_mov_b32_e32 v83, v138
	v_sub_f32_e32 v113, v63, v1
	v_add_f32_e32 v82, v49, v82
	v_fmac_f32_e32 v83, 0xbe3c28d5, v98
	v_add_f32_e32 v97, v0, v62
	v_add_f32_e32 v116, v1, v63
	v_mul_f32_e32 v130, 0x3e3c28d5, v113
	v_add_f32_e32 v82, v83, v82
	v_mul_f32_e32 v132, 0xbf7ba420, v116
	v_fma_f32 v83, v97, s17, -v130
	v_sub_f32_e32 v100, v62, v0
	v_add_f32_e32 v2, v83, v2
	v_mov_b32_e32 v83, v132
	v_fmac_f32_e32 v83, 0x3e3c28d5, v100
	v_mul_f32_e32 v139, 0x3f763a35, v113
	v_add_f32_e32 v3, v83, v3
	v_mul_f32_e32 v142, 0xbe8c1d8e, v116
	v_fma_f32 v83, v97, s18, -v139
	v_add_f32_e32 v81, v83, v81
	v_mov_b32_e32 v83, v142
	v_sub_f32_e32 v115, v53, v75
	v_fmac_f32_e32 v83, 0x3f763a35, v100
	v_add_f32_e32 v99, v74, v52
	v_add_f32_e32 v118, v75, v53
	v_mul_f32_e32 v133, 0x3f763a35, v115
	v_add_f32_e32 v82, v83, v82
	v_mul_f32_e32 v136, 0xbe8c1d8e, v118
	v_fma_f32 v83, v99, s18, -v133
	v_sub_f32_e32 v102, v52, v74
	v_add_f32_e32 v2, v83, v2
	v_mov_b32_e32 v83, v136
	v_fmac_f32_e32 v83, 0x3f763a35, v102
	s_mov_b32 s19, 0x3f6eb680
	v_mul_f32_e32 v143, 0x3eb8f4ab, v115
	v_add_f32_e32 v3, v83, v3
	v_mul_f32_e32 v146, 0x3f6eb680, v118
	v_fma_f32 v83, v99, s19, -v143
	v_add_f32_e32 v81, v83, v81
	v_mov_b32_e32 v83, v146
	v_sub_f32_e32 v117, v55, v73
	v_fmac_f32_e32 v83, 0x3eb8f4ab, v102
	v_add_f32_e32 v101, v72, v54
	v_add_f32_e32 v120, v73, v55
	s_mov_b32 s20, 0x3f3d2fb0
	v_mul_f32_e32 v137, 0x3f2c7751, v117
	v_add_f32_e32 v82, v83, v82
	v_mul_f32_e32 v141, 0x3f3d2fb0, v120
	v_fma_f32 v83, v101, s20, -v137
	v_sub_f32_e32 v104, v54, v72
	v_add_f32_e32 v2, v83, v2
	v_mov_b32_e32 v83, v141
	v_fmac_f32_e32 v83, 0x3f2c7751, v104
	v_mul_f32_e32 v147, 0xbf65296c, v117
	v_add_f32_e32 v3, v83, v3
	v_mul_f32_e32 v150, 0x3ee437d1, v120
	v_fma_f32 v83, v101, s14, -v147
	v_add_f32_e32 v81, v83, v81
	v_mov_b32_e32 v83, v150
	v_sub_f32_e32 v119, v65, v59
	v_fmac_f32_e32 v83, 0xbf65296c, v104
	v_add_f32_e32 v103, v58, v64
	v_add_f32_e32 v123, v59, v65
	v_mul_f32_e32 v140, 0xbeb8f4ab, v119
	v_add_f32_e32 v82, v83, v82
	v_mul_f32_e32 v144, 0x3f6eb680, v123
	v_fma_f32 v83, v103, s19, -v140
	v_sub_f32_e32 v106, v64, v58
	v_add_f32_e32 v2, v83, v2
	v_mov_b32_e32 v83, v144
	v_fmac_f32_e32 v83, 0xbeb8f4ab, v106
	s_mov_b32 s21, 0xbf59a7d5
	v_mul_f32_e32 v151, 0xbf06c442, v119
	v_add_f32_e32 v3, v83, v3
	v_mul_f32_e32 v154, 0xbf59a7d5, v123
	v_fma_f32 v83, v103, s21, -v151
	v_add_f32_e32 v81, v83, v81
	v_mov_b32_e32 v83, v154
	v_sub_f32_e32 v121, v67, v57
	v_fmac_f32_e32 v83, 0xbf06c442, v106
	v_add_f32_e32 v105, v56, v66
	v_add_f32_e32 v125, v57, v67
	v_mul_f32_e32 v145, 0xbf7ee86f, v121
	v_add_f32_e32 v82, v83, v82
	v_mul_f32_e32 v149, 0x3dbcf732, v125
	v_fma_f32 v83, v105, s15, -v145
	v_sub_f32_e32 v108, v66, v56
	v_add_f32_e32 v2, v83, v2
	v_mov_b32_e32 v83, v149
	v_fmac_f32_e32 v83, 0xbf7ee86f, v108
	v_mul_f32_e32 v153, 0x3f4c4adb, v121
	v_add_f32_e32 v3, v83, v3
	v_mul_f32_e32 v156, 0xbf1a4643, v125
	v_fma_f32 v83, v105, s16, -v153
	v_add_f32_e32 v83, v83, v81
	v_mov_b32_e32 v81, v156
	v_sub_f32_e32 v122, v69, v71
	v_fmac_f32_e32 v81, 0x3f4c4adb, v108
	v_add_f32_e32 v107, v70, v68
	v_add_f32_e32 v128, v71, v69
	v_mul_f32_e32 v148, 0xbf06c442, v122
	v_add_f32_e32 v84, v81, v82
	v_mul_f32_e32 v152, 0xbf59a7d5, v128
	v_fma_f32 v81, v107, s21, -v148
	v_sub_f32_e32 v109, v68, v70
	v_add_f32_e32 v81, v81, v2
	v_mov_b32_e32 v2, v152
	v_fmac_f32_e32 v2, 0xbf06c442, v109
	v_mul_f32_e32 v157, 0x3f3d2fb0, v128
	v_add_f32_e32 v82, v2, v3
	v_mul_f32_e32 v155, 0x3f2c7751, v122
	v_mov_b32_e32 v3, v157
	v_fma_f32 v2, v107, s20, -v155
	v_fmac_f32_e32 v3, 0x3f2c7751, v109
	v_add_f32_e32 v2, v2, v83
	v_add_f32_e32 v3, v3, v84
	s_waitcnt lgkmcnt(0)
	; wave barrier
	s_and_saveexec_b64 s[12:13], s[0:1]
	s_cbranch_execz .LBB0_17
; %bb.16:
	v_mul_f32_e32 v190, 0xbf7ba420, v112
	v_mov_b32_e32 v83, v190
	v_mul_f32_e32 v191, 0x3f6eb680, v114
	v_fmac_f32_e32 v83, 0x3e3c28d5, v96
	v_mov_b32_e32 v84, v191
	v_add_f32_e32 v83, v49, v83
	v_fmac_f32_e32 v84, 0xbeb8f4ab, v98
	v_mul_f32_e32 v192, 0xbf59a7d5, v116
	v_add_f32_e32 v83, v84, v83
	v_mov_b32_e32 v84, v192
	v_fmac_f32_e32 v84, 0x3f06c442, v100
	v_mul_f32_e32 v193, 0x3f3d2fb0, v118
	v_add_f32_e32 v83, v84, v83
	v_mov_b32_e32 v84, v193
	v_fmac_f32_e32 v84, 0xbf2c7751, v102
	v_mul_f32_e32 v194, 0xbf1a4643, v120
	v_add_f32_e32 v83, v84, v83
	v_mov_b32_e32 v84, v194
	v_fmac_f32_e32 v84, 0x3f4c4adb, v104
	v_mul_f32_e32 v195, 0x3ee437d1, v123
	v_add_f32_e32 v83, v84, v83
	v_mov_b32_e32 v84, v195
	v_fmac_f32_e32 v84, 0xbf65296c, v106
	v_mul_f32_e32 v196, 0xbe8c1d8e, v125
	v_add_f32_e32 v83, v84, v83
	v_mov_b32_e32 v84, v196
	v_fmac_f32_e32 v84, 0x3f763a35, v108
	v_mul_f32_e32 v197, 0x3dbcf732, v128
	v_add_f32_e32 v83, v84, v83
	v_mov_b32_e32 v84, v197
	v_fmac_f32_e32 v84, 0xbf7ee86f, v109
	v_mul_f32_e32 v198, 0xbe3c28d5, v110
	v_add_f32_e32 v84, v84, v83
	v_mov_b32_e32 v83, v198
	v_mul_f32_e32 v199, 0x3eb8f4ab, v111
	v_fmac_f32_e32 v83, 0xbf7ba420, v94
	v_mov_b32_e32 v85, v199
	v_add_f32_e32 v83, v48, v83
	v_fmac_f32_e32 v85, 0x3f6eb680, v95
	v_mul_f32_e32 v200, 0xbf06c442, v113
	v_add_f32_e32 v83, v85, v83
	v_mov_b32_e32 v85, v200
	v_fmac_f32_e32 v85, 0xbf59a7d5, v97
	v_mul_f32_e32 v201, 0x3f2c7751, v115
	v_add_f32_e32 v83, v85, v83
	v_mov_b32_e32 v85, v201
	v_fmac_f32_e32 v85, 0x3f3d2fb0, v99
	v_mul_f32_e32 v202, 0xbf4c4adb, v117
	v_add_f32_e32 v83, v85, v83
	v_mov_b32_e32 v85, v202
	v_fmac_f32_e32 v85, 0xbf1a4643, v101
	v_mul_f32_e32 v203, 0x3f65296c, v119
	v_add_f32_e32 v83, v85, v83
	v_mov_b32_e32 v85, v203
	v_fmac_f32_e32 v85, 0x3ee437d1, v103
	v_mul_f32_e32 v204, 0xbf763a35, v121
	v_add_f32_e32 v83, v85, v83
	v_mov_b32_e32 v85, v204
	v_fmac_f32_e32 v85, 0xbe8c1d8e, v105
	v_mul_f32_e32 v205, 0x3f7ee86f, v122
	v_add_f32_e32 v83, v85, v83
	v_mov_b32_e32 v85, v205
	v_fmac_f32_e32 v85, 0x3dbcf732, v107
	v_mul_f32_e32 v206, 0xbf59a7d5, v112
	v_add_f32_e32 v83, v85, v83
	;; [unrolled: 32-line block ×3, first 2 shown]
	v_mov_b32_e32 v85, v214
	v_mul_f32_e32 v215, 0x3f65296c, v111
	v_fmac_f32_e32 v85, 0xbf59a7d5, v94
	v_mov_b32_e32 v87, v215
	v_add_f32_e32 v85, v48, v85
	v_fmac_f32_e32 v87, 0x3ee437d1, v95
	v_mul_f32_e32 v216, 0xbf7ee86f, v113
	v_add_f32_e32 v85, v87, v85
	v_mov_b32_e32 v87, v216
	v_fmac_f32_e32 v87, 0x3dbcf732, v97
	v_mul_f32_e32 v217, 0x3f4c4adb, v115
	v_add_f32_e32 v85, v87, v85
	v_mov_b32_e32 v87, v217
	;; [unrolled: 4-line block ×3, first 2 shown]
	v_add_f32_e32 v50, v50, v48
	v_fmac_f32_e32 v87, 0x3f6eb680, v101
	v_mul_f32_e32 v219, 0xbe3c28d5, v119
	v_add_f32_e32 v50, v60, v50
	v_add_f32_e32 v85, v87, v85
	v_mov_b32_e32 v87, v219
	v_add_f32_e32 v50, v62, v50
	v_fmac_f32_e32 v87, 0xbf7ba420, v103
	v_mul_f32_e32 v220, 0x3f2c7751, v121
	v_add_f32_e32 v50, v52, v50
	v_add_f32_e32 v85, v87, v85
	v_mov_b32_e32 v87, v220
	v_add_f32_e32 v50, v54, v50
	v_fmac_f32_e32 v87, 0x3f3d2fb0, v105
	v_mul_f32_e32 v221, 0xbf763a35, v122
	v_add_f32_e32 v50, v64, v50
	v_mul_f32_e32 v161, 0xbf7ee86f, v96
	v_add_f32_e32 v85, v87, v85
	v_mov_b32_e32 v87, v221
	v_add_f32_e32 v50, v66, v50
	v_mul_f32_e32 v165, 0xbe3c28d5, v98
	v_fmac_f32_e32 v87, 0xbe8c1d8e, v107
	v_mul_f32_e32 v222, 0xbf1a4643, v112
	v_sub_f32_e32 v134, v134, v161
	v_add_f32_e32 v51, v51, v49
	v_add_f32_e32 v50, v68, v50
	v_mul_f32_e32 v169, 0x3f763a35, v100
	v_add_f32_e32 v85, v87, v85
	v_mov_b32_e32 v87, v222
	v_mul_f32_e32 v223, 0xbe8c1d8e, v114
	v_add_f32_e32 v134, v49, v134
	v_sub_f32_e32 v138, v138, v165
	v_add_f32_e32 v51, v61, v51
	v_add_f32_e32 v50, v70, v50
	v_mul_f32_e32 v173, 0x3eb8f4ab, v102
	v_fmac_f32_e32 v87, 0x3f4c4adb, v96
	v_mov_b32_e32 v88, v223
	v_add_f32_e32 v134, v138, v134
	v_sub_f32_e32 v138, v142, v169
	v_add_f32_e32 v51, v63, v51
	v_add_f32_e32 v50, v56, v50
	v_mul_f32_e32 v177, 0xbf65296c, v104
	v_add_f32_e32 v87, v49, v87
	v_fmac_f32_e32 v88, 0xbf763a35, v98
	v_mul_f32_e32 v224, 0x3f6eb680, v116
	v_add_f32_e32 v134, v138, v134
	v_sub_f32_e32 v138, v146, v173
	v_add_f32_e32 v51, v53, v51
	v_add_f32_e32 v50, v58, v50
	v_mul_f32_e32 v181, 0xbf06c442, v106
	v_add_f32_e32 v87, v88, v87
	v_mov_b32_e32 v88, v224
	v_add_f32_e32 v134, v138, v134
	v_sub_f32_e32 v138, v150, v177
	v_add_f32_e32 v51, v55, v51
	v_add_f32_e32 v50, v72, v50
	v_mul_f32_e32 v185, 0x3f4c4adb, v108
	v_fmac_f32_e32 v88, 0x3eb8f4ab, v100
	v_mul_f32_e32 v225, 0xbf59a7d5, v118
	v_add_f32_e32 v134, v138, v134
	v_sub_f32_e32 v138, v154, v181
	v_add_f32_e32 v51, v65, v51
	v_add_f32_e32 v50, v74, v50
	v_fmac_f32_e32 v190, 0xbe3c28d5, v96
	v_mul_f32_e32 v159, 0xbf65296c, v96
	v_mul_f32_e32 v160, 0x3dbcf732, v94
	;; [unrolled: 1-line block ×3, first 2 shown]
	v_add_f32_e32 v87, v88, v87
	v_mov_b32_e32 v88, v225
	v_add_f32_e32 v134, v138, v134
	v_sub_f32_e32 v138, v156, v185
	v_add_f32_e32 v51, v67, v51
	v_add_f32_e32 v0, v0, v50
	;; [unrolled: 1-line block ×3, first 2 shown]
	v_fmac_f32_e32 v191, 0x3eb8f4ab, v98
	v_mul_f32_e32 v163, 0xbf4c4adb, v98
	v_mul_f32_e32 v164, 0xbf7ba420, v95
	v_fmac_f32_e32 v88, 0x3f06c442, v102
	v_mul_f32_e32 v226, 0x3dbcf732, v120
	v_add_f32_e32 v134, v138, v134
	v_sub_f32_e32 v138, v157, v189
	v_add_f32_e32 v131, v160, v131
	v_sub_f32_e32 v126, v126, v159
	v_add_f32_e32 v51, v69, v51
	v_add_f32_e32 v50, v191, v50
	v_fmac_f32_e32 v192, 0xbf06c442, v100
	v_mul_f32_e32 v167, 0x3e3c28d5, v100
	v_mul_f32_e32 v168, 0xbe8c1d8e, v97
	v_add_f32_e32 v87, v88, v87
	v_mov_b32_e32 v88, v226
	v_add_f32_e32 v154, v138, v134
	v_add_f32_e32 v131, v48, v131
	;; [unrolled: 1-line block ×4, first 2 shown]
	v_sub_f32_e32 v129, v129, v163
	v_add_f32_e32 v51, v71, v51
	v_add_f32_e32 v50, v192, v50
	v_fmac_f32_e32 v193, 0x3f2c7751, v102
	v_mul_f32_e32 v171, 0x3f763a35, v102
	v_mul_f32_e32 v172, 0x3f6eb680, v99
	v_fmac_f32_e32 v88, 0xbf7ee86f, v104
	v_mul_f32_e32 v227, 0x3f3d2fb0, v123
	v_add_f32_e32 v131, v134, v131
	v_add_f32_e32 v134, v168, v139
	;; [unrolled: 1-line block ×3, first 2 shown]
	v_sub_f32_e32 v129, v132, v167
	v_add_f32_e32 v51, v57, v51
	v_add_f32_e32 v50, v193, v50
	v_fmac_f32_e32 v194, 0xbf4c4adb, v104
	v_mul_f32_e32 v175, 0x3f2c7751, v104
	v_mul_f32_e32 v176, 0x3ee437d1, v101
	v_add_f32_e32 v87, v88, v87
	v_mov_b32_e32 v88, v227
	v_add_f32_e32 v131, v134, v131
	v_add_f32_e32 v134, v172, v143
	;; [unrolled: 1-line block ×3, first 2 shown]
	v_sub_f32_e32 v129, v136, v171
	v_add_f32_e32 v51, v59, v51
	v_add_f32_e32 v50, v194, v50
	v_fmac_f32_e32 v195, 0x3f65296c, v106
	v_mul_f32_e32 v179, 0xbeb8f4ab, v106
	v_mul_f32_e32 v180, 0xbf59a7d5, v103
	v_fmac_f32_e32 v88, 0x3f2c7751, v106
	v_mul_f32_e32 v228, 0xbf7ba420, v125
	v_add_f32_e32 v131, v134, v131
	v_add_f32_e32 v134, v176, v147
	;; [unrolled: 1-line block ×3, first 2 shown]
	v_sub_f32_e32 v129, v141, v175
	v_add_f32_e32 v51, v73, v51
	v_add_f32_e32 v50, v195, v50
	v_fmac_f32_e32 v196, 0xbf763a35, v108
	v_mul_f32_e32 v183, 0xbf7ee86f, v108
	v_mul_f32_e32 v184, 0xbf1a4643, v105
	v_add_f32_e32 v87, v88, v87
	v_mov_b32_e32 v88, v228
	v_add_f32_e32 v131, v134, v131
	v_add_f32_e32 v134, v180, v151
	;; [unrolled: 1-line block ×3, first 2 shown]
	v_sub_f32_e32 v129, v144, v179
	v_add_f32_e32 v51, v75, v51
	v_add_f32_e32 v50, v196, v50
	v_fmac_f32_e32 v197, 0x3f7ee86f, v109
	v_mul_f32_e32 v158, 0x3ee437d1, v94
	v_mul_f32_e32 v187, 0xbf06c442, v109
	;; [unrolled: 1-line block ×3, first 2 shown]
	v_fmac_f32_e32 v88, 0x3e3c28d5, v108
	v_mul_f32_e32 v229, 0x3ee437d1, v128
	v_add_f32_e32 v131, v134, v131
	v_add_f32_e32 v134, v184, v153
	;; [unrolled: 1-line block ×3, first 2 shown]
	v_sub_f32_e32 v129, v149, v183
	v_add_f32_e32 v1, v1, v51
	v_add_f32_e32 v51, v197, v50
	v_fma_f32 v50, v94, s17, -v198
	v_mul_f32_e32 v162, 0xbf1a4643, v95
	v_add_f32_e32 v87, v88, v87
	v_mov_b32_e32 v88, v229
	v_add_f32_e32 v131, v134, v131
	v_add_f32_e32 v134, v188, v155
	;; [unrolled: 1-line block ×3, first 2 shown]
	v_sub_f32_e32 v129, v152, v187
	v_add_f32_e32 v124, v158, v124
	v_add_f32_e32 v50, v48, v50
	v_fma_f32 v52, v95, s19, -v199
	v_mul_f32_e32 v166, 0xbf7ba420, v97
	v_fmac_f32_e32 v88, 0xbf65296c, v109
	v_mul_f32_e32 v230, 0xbf4c4adb, v110
	v_add_f32_e32 v153, v134, v131
	v_add_f32_e32 v131, v129, v126
	v_add_f32_e32 v124, v48, v124
	v_add_f32_e32 v126, v162, v127
	v_add_f32_e32 v50, v52, v50
	v_fma_f32 v52, v97, s21, -v200
	v_mul_f32_e32 v170, 0xbe8c1d8e, v99
	v_add_f32_e32 v88, v88, v87
	v_mov_b32_e32 v87, v230
	v_mul_f32_e32 v231, 0x3f763a35, v111
	v_add_f32_e32 v124, v126, v124
	v_add_f32_e32 v126, v166, v130
	v_add_f32_e32 v50, v52, v50
	v_fma_f32 v52, v99, s20, -v201
	v_mul_f32_e32 v174, 0x3f3d2fb0, v101
	v_fmac_f32_e32 v87, 0xbf1a4643, v94
	v_mov_b32_e32 v89, v231
	v_add_f32_e32 v124, v126, v124
	v_add_f32_e32 v126, v170, v133
	;; [unrolled: 1-line block ×3, first 2 shown]
	v_fma_f32 v52, v101, s16, -v202
	v_mul_f32_e32 v178, 0x3f6eb680, v103
	v_add_f32_e32 v87, v48, v87
	v_fmac_f32_e32 v89, 0xbe8c1d8e, v95
	v_mul_f32_e32 v232, 0xbeb8f4ab, v113
	v_add_f32_e32 v124, v126, v124
	v_add_f32_e32 v126, v174, v137
	;; [unrolled: 1-line block ×3, first 2 shown]
	v_fma_f32 v52, v103, s14, -v203
	v_mul_f32_e32 v182, 0x3dbcf732, v105
	v_add_f32_e32 v87, v89, v87
	v_mov_b32_e32 v89, v232
	v_add_f32_e32 v124, v126, v124
	v_add_f32_e32 v126, v178, v140
	v_add_f32_e32 v50, v52, v50
	v_fma_f32 v52, v105, s18, -v204
	v_mul_f32_e32 v186, 0xbf59a7d5, v107
	v_fmac_f32_e32 v89, 0x3f6eb680, v97
	v_mul_f32_e32 v233, 0xbf06c442, v115
	v_add_f32_e32 v124, v126, v124
	v_add_f32_e32 v126, v182, v145
	;; [unrolled: 1-line block ×3, first 2 shown]
	v_fma_f32 v52, v107, s15, -v205
	v_fmac_f32_e32 v206, 0xbf06c442, v96
	v_add_f32_e32 v87, v89, v87
	v_mov_b32_e32 v89, v233
	v_add_f32_e32 v124, v126, v124
	v_add_f32_e32 v126, v186, v148
	;; [unrolled: 1-line block ×4, first 2 shown]
	v_fmac_f32_e32 v207, 0x3f65296c, v98
	v_fmac_f32_e32 v89, 0xbf59a7d5, v99
	v_mul_f32_e32 v234, 0x3f7ee86f, v117
	v_add_f32_e32 v130, v126, v124
	v_mul_f32_e32 v124, 0x3f3d2fb0, v112
	v_add_f32_e32 v52, v207, v52
	v_fmac_f32_e32 v208, 0xbf7ee86f, v100
	v_add_f32_e32 v87, v89, v87
	v_mov_b32_e32 v89, v234
	v_mov_b32_e32 v126, v124
	v_mul_f32_e32 v129, 0x3dbcf732, v114
	v_add_f32_e32 v52, v208, v52
	v_fmac_f32_e32 v209, 0x3f4c4adb, v102
	v_fmac_f32_e32 v89, 0x3dbcf732, v101
	v_mul_f32_e32 v235, 0xbf2c7751, v119
	v_fmac_f32_e32 v126, 0x3f2c7751, v96
	v_mov_b32_e32 v127, v129
	v_add_f32_e32 v52, v209, v52
	v_fmac_f32_e32 v210, 0xbeb8f4ab, v104
	v_add_f32_e32 v87, v89, v87
	v_mov_b32_e32 v89, v235
	v_add_f32_e32 v126, v49, v126
	v_fmac_f32_e32 v127, 0x3f7ee86f, v98
	v_mul_f32_e32 v132, 0xbf1a4643, v116
	v_add_f32_e32 v52, v210, v52
	v_fmac_f32_e32 v211, 0xbe3c28d5, v106
	v_fmac_f32_e32 v89, 0x3f3d2fb0, v103
	v_mul_f32_e32 v236, 0xbe3c28d5, v121
	v_add_f32_e32 v126, v127, v126
	v_mov_b32_e32 v127, v132
	v_add_f32_e32 v52, v211, v52
	v_fmac_f32_e32 v212, 0x3f2c7751, v108
	v_add_f32_e32 v87, v89, v87
	v_mov_b32_e32 v89, v236
	v_fmac_f32_e32 v127, 0x3f4c4adb, v100
	v_mul_f32_e32 v133, 0xbf7ba420, v118
	v_add_f32_e32 v52, v212, v52
	v_fmac_f32_e32 v213, 0xbf763a35, v109
	v_fmac_f32_e32 v89, 0xbf7ba420, v105
	v_mul_f32_e32 v237, 0x3f65296c, v122
	v_add_f32_e32 v126, v127, v126
	v_mov_b32_e32 v127, v133
	v_add_f32_e32 v53, v213, v52
	v_fma_f32 v52, v94, s21, -v214
	v_add_f32_e32 v87, v89, v87
	v_mov_b32_e32 v89, v237
	v_fmac_f32_e32 v127, 0x3e3c28d5, v102
	v_mul_f32_e32 v134, 0xbf59a7d5, v120
	v_add_f32_e32 v52, v48, v52
	v_fma_f32 v54, v95, s14, -v215
	v_fmac_f32_e32 v89, 0x3ee437d1, v107
	v_mul_f32_e32 v238, 0xbe8c1d8e, v112
	v_add_f32_e32 v126, v127, v126
	v_mov_b32_e32 v127, v134
	v_add_f32_e32 v52, v54, v52
	v_fma_f32 v54, v97, s15, -v216
	v_add_f32_e32 v87, v89, v87
	v_mov_b32_e32 v89, v238
	v_mul_f32_e32 v239, 0xbf59a7d5, v114
	v_fmac_f32_e32 v127, 0xbf06c442, v104
	v_mul_f32_e32 v135, 0xbe8c1d8e, v123
	v_add_f32_e32 v52, v54, v52
	v_fma_f32 v54, v99, s16, -v217
	v_fmac_f32_e32 v89, 0x3f763a35, v96
	v_mov_b32_e32 v90, v239
	v_add_f32_e32 v126, v127, v126
	v_mov_b32_e32 v127, v135
	v_add_f32_e32 v52, v54, v52
	v_fma_f32 v54, v101, s19, -v218
	v_add_f32_e32 v89, v49, v89
	v_fmac_f32_e32 v90, 0xbf06c442, v98
	v_mul_f32_e32 v240, 0x3f3d2fb0, v116
	v_fmac_f32_e32 v127, 0xbf763a35, v106
	v_mul_f32_e32 v136, 0x3ee437d1, v125
	v_add_f32_e32 v52, v54, v52
	v_fma_f32 v54, v103, s17, -v219
	v_add_f32_e32 v89, v90, v89
	v_mov_b32_e32 v90, v240
	v_add_f32_e32 v126, v127, v126
	v_mov_b32_e32 v127, v136
	v_add_f32_e32 v52, v54, v52
	v_fma_f32 v54, v105, s20, -v220
	v_fmac_f32_e32 v90, 0xbf2c7751, v100
	v_mul_f32_e32 v241, 0x3ee437d1, v118
	v_fmac_f32_e32 v127, 0xbf65296c, v108
	v_mul_f32_e32 v137, 0x3f6eb680, v128
	v_add_f32_e32 v52, v54, v52
	v_fma_f32 v54, v107, s18, -v221
	v_fmac_f32_e32 v222, 0xbf4c4adb, v96
	v_add_f32_e32 v89, v90, v89
	v_mov_b32_e32 v90, v241
	v_add_f32_e32 v126, v127, v126
	v_mov_b32_e32 v127, v137
	v_add_f32_e32 v52, v54, v52
	v_add_f32_e32 v54, v49, v222
	v_fmac_f32_e32 v223, 0x3f763a35, v98
	v_fmac_f32_e32 v90, 0x3f65296c, v102
	v_mul_f32_e32 v242, 0xbf7ba420, v120
	v_fmac_f32_e32 v127, 0xbeb8f4ab, v109
	v_mul_f32_e32 v138, 0xbf2c7751, v110
	v_add_f32_e32 v54, v223, v54
	v_fmac_f32_e32 v224, 0xbeb8f4ab, v100
	v_add_f32_e32 v89, v90, v89
	v_mov_b32_e32 v90, v242
	v_add_f32_e32 v127, v127, v126
	v_mov_b32_e32 v126, v138
	v_mul_f32_e32 v139, 0xbf7ee86f, v111
	v_add_f32_e32 v54, v224, v54
	v_fmac_f32_e32 v225, 0xbf06c442, v102
	v_fmac_f32_e32 v90, 0x3e3c28d5, v104
	v_mul_f32_e32 v243, 0x3dbcf732, v123
	v_fmac_f32_e32 v126, 0x3f3d2fb0, v94
	v_mov_b32_e32 v140, v139
	v_add_f32_e32 v54, v225, v54
	v_fmac_f32_e32 v226, 0x3f7ee86f, v104
	v_add_f32_e32 v89, v90, v89
	v_mov_b32_e32 v90, v243
	v_add_f32_e32 v126, v48, v126
	v_fmac_f32_e32 v140, 0x3dbcf732, v95
	v_add_f32_e32 v54, v226, v54
	v_fmac_f32_e32 v227, 0xbf2c7751, v106
	v_fmac_f32_e32 v90, 0xbf7ee86f, v106
	v_mul_f32_e32 v244, 0x3f6eb680, v125
	v_add_f32_e32 v126, v140, v126
	v_mul_f32_e32 v140, 0xbf4c4adb, v113
	v_add_f32_e32 v54, v227, v54
	v_fmac_f32_e32 v228, 0xbe3c28d5, v108
	v_add_f32_e32 v89, v90, v89
	v_mov_b32_e32 v90, v244
	v_mov_b32_e32 v141, v140
	v_add_f32_e32 v54, v228, v54
	v_fmac_f32_e32 v229, 0x3f65296c, v109
	v_fmac_f32_e32 v90, 0x3eb8f4ab, v108
	v_mul_f32_e32 v245, 0xbf1a4643, v128
	v_fmac_f32_e32 v141, 0xbf1a4643, v97
	v_add_f32_e32 v55, v229, v54
	v_fma_f32 v54, v94, s16, -v230
	v_add_f32_e32 v89, v90, v89
	v_mov_b32_e32 v90, v245
	v_add_f32_e32 v126, v141, v126
	v_mul_f32_e32 v141, 0xbe3c28d5, v115
	v_add_f32_e32 v54, v48, v54
	v_fma_f32 v56, v95, s18, -v231
	v_fmac_f32_e32 v90, 0x3f4c4adb, v109
	v_mul_f32_e32 v246, 0xbf763a35, v110
	v_mov_b32_e32 v142, v141
	v_add_f32_e32 v54, v56, v54
	v_fma_f32 v56, v97, s19, -v232
	v_add_f32_e32 v90, v90, v89
	v_mov_b32_e32 v89, v246
	v_mul_f32_e32 v247, 0x3f06c442, v111
	v_fmac_f32_e32 v142, 0xbf7ba420, v99
	v_add_f32_e32 v54, v56, v54
	v_fma_f32 v56, v99, s21, -v233
	v_fmac_f32_e32 v89, 0xbe8c1d8e, v94
	v_mov_b32_e32 v248, v247
	v_add_f32_e32 v126, v142, v126
	v_mul_f32_e32 v142, 0x3f06c442, v117
	v_add_f32_e32 v54, v56, v54
	v_fma_f32 v56, v101, s15, -v234
	v_add_f32_e32 v89, v48, v89
	v_fmac_f32_e32 v248, 0xbf59a7d5, v95
	v_mov_b32_e32 v143, v142
	v_add_f32_e32 v54, v56, v54
	v_fma_f32 v56, v103, s20, -v235
	v_add_f32_e32 v89, v248, v89
	v_mul_f32_e32 v248, 0x3f2c7751, v113
	v_fmac_f32_e32 v143, 0xbf59a7d5, v101
	v_add_f32_e32 v54, v56, v54
	v_fma_f32 v56, v105, s17, -v236
	v_mov_b32_e32 v249, v248
	v_add_f32_e32 v126, v143, v126
	v_mul_f32_e32 v143, 0x3f763a35, v119
	v_add_f32_e32 v54, v56, v54
	v_fma_f32 v56, v107, s14, -v237
	v_fmac_f32_e32 v238, 0xbf763a35, v96
	v_fmac_f32_e32 v249, 0x3f3d2fb0, v97
	v_mov_b32_e32 v144, v143
	v_add_f32_e32 v54, v56, v54
	v_add_f32_e32 v56, v49, v238
	v_fmac_f32_e32 v239, 0x3f06c442, v98
	v_add_f32_e32 v89, v249, v89
	v_mul_f32_e32 v249, 0xbf65296c, v115
	v_fmac_f32_e32 v144, 0xbe8c1d8e, v103
	v_add_f32_e32 v56, v239, v56
	v_fmac_f32_e32 v240, 0x3f2c7751, v100
	v_mov_b32_e32 v250, v249
	v_add_f32_e32 v126, v144, v126
	v_mul_f32_e32 v144, 0x3f65296c, v121
	v_add_f32_e32 v56, v240, v56
	v_fmac_f32_e32 v241, 0xbf65296c, v102
	v_fmac_f32_e32 v250, 0x3ee437d1, v99
	v_mov_b32_e32 v145, v144
	v_add_f32_e32 v56, v241, v56
	v_fmac_f32_e32 v242, 0xbe3c28d5, v104
	v_add_f32_e32 v89, v250, v89
	v_mul_f32_e32 v250, 0xbe3c28d5, v117
	v_fmac_f32_e32 v145, 0x3ee437d1, v105
	v_add_f32_e32 v56, v242, v56
	v_fmac_f32_e32 v243, 0x3f7ee86f, v106
	v_mov_b32_e32 v251, v250
	v_add_f32_e32 v126, v145, v126
	v_mul_f32_e32 v145, 0x3eb8f4ab, v122
	v_add_f32_e32 v56, v243, v56
	v_fmac_f32_e32 v244, 0xbeb8f4ab, v108
	v_fmac_f32_e32 v251, 0xbf7ba420, v101
	v_mov_b32_e32 v146, v145
	v_add_f32_e32 v56, v244, v56
	v_fmac_f32_e32 v245, 0xbf4c4adb, v109
	v_add_f32_e32 v89, v251, v89
	v_mul_f32_e32 v251, 0x3f7ee86f, v119
	v_fmac_f32_e32 v146, 0x3f6eb680, v107
	v_add_f32_e32 v57, v245, v56
	v_fma_f32 v56, v94, s18, -v246
	v_mov_b32_e32 v252, v251
	v_add_f32_e32 v126, v146, v126
	v_mul_f32_e32 v146, 0x3f6eb680, v112
	v_add_f32_e32 v56, v48, v56
	v_fma_f32 v58, v95, s21, -v247
	v_fmac_f32_e32 v252, 0x3dbcf732, v103
	v_mov_b32_e32 v112, v146
	v_mul_f32_e32 v114, 0x3f3d2fb0, v114
	v_add_f32_e32 v56, v58, v56
	v_fma_f32 v58, v97, s20, -v248
	v_add_f32_e32 v89, v252, v89
	v_mul_f32_e32 v252, 0xbeb8f4ab, v121
	v_fmac_f32_e32 v112, 0x3eb8f4ab, v96
	v_mov_b32_e32 v147, v114
	v_add_f32_e32 v56, v58, v56
	v_fma_f32 v58, v99, s14, -v249
	v_mov_b32_e32 v253, v252
	v_add_f32_e32 v112, v49, v112
	v_fmac_f32_e32 v147, 0x3f2c7751, v98
	v_mul_f32_e32 v116, 0x3ee437d1, v116
	v_add_f32_e32 v56, v58, v56
	v_fma_f32 v58, v101, s17, -v250
	v_fmac_f32_e32 v253, 0x3f6eb680, v105
	v_add_f32_e32 v112, v147, v112
	v_mov_b32_e32 v147, v116
	v_add_f32_e32 v56, v58, v56
	v_fma_f32 v58, v103, s15, -v251
	v_add_f32_e32 v89, v253, v89
	v_mul_f32_e32 v253, 0xbf4c4adb, v122
	v_fmac_f32_e32 v147, 0x3f65296c, v100
	v_mul_f32_e32 v118, 0x3dbcf732, v118
	v_add_f32_e32 v56, v58, v56
	v_fma_f32 v58, v105, s19, -v252
	v_add_f32_e32 v112, v147, v112
	v_mov_b32_e32 v147, v118
	v_add_f32_e32 v56, v58, v56
	v_fma_f32 v58, v107, s16, -v253
	v_fmac_f32_e32 v124, 0xbf2c7751, v96
	v_fmac_f32_e32 v147, 0x3f7ee86f, v102
	v_mul_f32_e32 v120, 0xbe8c1d8e, v120
	v_add_f32_e32 v56, v58, v56
	v_add_f32_e32 v58, v49, v124
	v_fmac_f32_e32 v129, 0xbf7ee86f, v98
	v_add_f32_e32 v112, v147, v112
	v_mov_b32_e32 v147, v120
	v_add_f32_e32 v58, v129, v58
	v_fmac_f32_e32 v132, 0xbf4c4adb, v100
	v_fmac_f32_e32 v147, 0x3f763a35, v104
	v_mul_f32_e32 v123, 0xbf1a4643, v123
	v_add_f32_e32 v58, v132, v58
	v_fmac_f32_e32 v133, 0xbe3c28d5, v102
	v_add_f32_e32 v112, v147, v112
	v_mov_b32_e32 v147, v123
	v_add_f32_e32 v58, v133, v58
	v_fmac_f32_e32 v134, 0x3f06c442, v104
	v_fmac_f32_e32 v147, 0x3f4c4adb, v106
	v_mul_f32_e32 v125, 0xbf59a7d5, v125
	;; [unrolled: 8-line block ×3, first 2 shown]
	v_add_f32_e32 v58, v136, v58
	v_fmac_f32_e32 v137, 0x3eb8f4ab, v109
	v_add_f32_e32 v112, v147, v112
	v_mov_b32_e32 v147, v128
	v_add_f32_e32 v59, v137, v58
	v_fma_f32 v58, v94, s20, -v138
	v_fmac_f32_e32 v147, 0x3e3c28d5, v109
	v_mul_f32_e32 v110, 0xbeb8f4ab, v110
	v_add_f32_e32 v58, v48, v58
	v_fma_f32 v60, v95, s15, -v139
	v_add_f32_e32 v112, v147, v112
	v_mov_b32_e32 v147, v110
	v_mul_f32_e32 v148, 0xbf2c7751, v111
	v_add_f32_e32 v58, v60, v58
	v_fma_f32 v60, v97, s16, -v140
	v_fmac_f32_e32 v147, 0x3f6eb680, v94
	v_mov_b32_e32 v111, v148
	v_add_f32_e32 v58, v60, v58
	v_fma_f32 v60, v99, s17, -v141
	v_add_f32_e32 v147, v48, v147
	v_fmac_f32_e32 v111, 0x3f3d2fb0, v95
	v_mul_f32_e32 v113, 0xbf65296c, v113
	v_add_f32_e32 v58, v60, v58
	v_fma_f32 v60, v101, s21, -v142
	v_add_f32_e32 v111, v111, v147
	v_mov_b32_e32 v147, v113
	v_add_f32_e32 v58, v60, v58
	v_fma_f32 v60, v103, s18, -v143
	v_fmac_f32_e32 v147, 0x3ee437d1, v97
	v_mul_f32_e32 v115, 0xbf7ee86f, v115
	v_add_f32_e32 v58, v60, v58
	v_fma_f32 v60, v105, s14, -v144
	v_add_f32_e32 v111, v147, v111
	v_mov_b32_e32 v147, v115
	v_add_f32_e32 v58, v60, v58
	v_fma_f32 v60, v107, s19, -v145
	;; [unrolled: 8-line block ×3, first 2 shown]
	v_fmac_f32_e32 v147, 0xbe8c1d8e, v101
	v_mul_f32_e32 v119, 0xbf4c4adb, v119
	v_fmac_f32_e32 v146, 0xbeb8f4ab, v96
	v_add_f32_e32 v48, v60, v48
	v_fma_f32 v60, v97, s14, -v113
	v_add_f32_e32 v111, v147, v111
	v_mov_b32_e32 v147, v119
	v_add_f32_e32 v49, v49, v146
	v_fmac_f32_e32 v114, 0xbf2c7751, v98
	v_add_f32_e32 v48, v60, v48
	v_fma_f32 v60, v99, s15, -v115
	v_fmac_f32_e32 v147, 0xbf1a4643, v103
	v_mul_f32_e32 v121, 0xbf06c442, v121
	v_add_f32_e32 v49, v114, v49
	v_fmac_f32_e32 v116, 0xbf65296c, v100
	v_add_f32_e32 v48, v60, v48
	v_fma_f32 v60, v101, s18, -v117
	v_add_f32_e32 v111, v147, v111
	v_mov_b32_e32 v147, v121
	v_add_f32_e32 v49, v116, v49
	v_fmac_f32_e32 v118, 0xbf7ee86f, v102
	v_add_f32_e32 v48, v60, v48
	v_fma_f32 v60, v103, s16, -v119
	v_fmac_f32_e32 v147, 0xbf59a7d5, v105
	v_mul_f32_e32 v122, 0xbe3c28d5, v122
	v_add_f32_e32 v49, v118, v49
	v_fmac_f32_e32 v120, 0xbf763a35, v104
	v_add_f32_e32 v48, v60, v48
	v_fma_f32 v60, v105, s21, -v121
	v_add_f32_e32 v111, v147, v111
	v_mov_b32_e32 v147, v122
	v_add_f32_e32 v49, v120, v49
	v_fmac_f32_e32 v123, 0xbf4c4adb, v106
	v_add_f32_e32 v48, v60, v48
	v_fma_f32 v60, v107, s17, -v122
	v_mov_b32_e32 v254, v253
	v_fmac_f32_e32 v147, 0xbf7ba420, v107
	v_add_f32_e32 v1, v80, v1
	v_add_f32_e32 v0, v79, v0
	;; [unrolled: 1-line block ×3, first 2 shown]
	v_fmac_f32_e32 v125, 0xbf06c442, v108
	v_add_f32_e32 v48, v60, v48
	v_mul_lo_u16_e32 v60, 17, v92
	v_fmac_f32_e32 v254, 0xbf1a4643, v107
	v_add_f32_e32 v111, v147, v111
	v_add_f32_e32 v1, v78, v1
	;; [unrolled: 1-line block ×4, first 2 shown]
	v_fmac_f32_e32 v128, 0xbe3c28d5, v109
	v_lshlrev_b32_e32 v60, 3, v60
	v_add_f32_e32 v89, v254, v89
	v_add_f32_e32 v49, v128, v49
	ds_write2_b64 v60, v[0:1], v[111:112] offset1:1
	ds_write2_b64 v60, v[126:127], v[130:131] offset0:2 offset1:3
	ds_write2_b64 v60, v[153:154], v[89:90] offset0:4 offset1:5
	ds_write2_b64 v60, v[87:88], v[85:86] offset0:6 offset1:7
	ds_write2_b64 v60, v[83:84], v[50:51] offset0:8 offset1:9
	ds_write2_b64 v60, v[52:53], v[54:55] offset0:10 offset1:11
	ds_write2_b64 v60, v[56:57], v[2:3] offset0:12 offset1:13
	ds_write2_b64 v60, v[81:82], v[58:59] offset0:14 offset1:15
	ds_write_b64 v60, v[48:49] offset:128
.LBB0_17:
	s_or_b64 exec, exec, s[12:13]
	s_waitcnt lgkmcnt(0)
	; wave barrier
	s_waitcnt lgkmcnt(0)
	ds_read2_b64 v[49:52], v91 offset1:51
	ds_read2_b64 v[53:56], v91 offset0:102 offset1:153
	ds_read2_b64 v[57:60], v91 offset0:204 offset1:255
	v_add_u32_e32 v48, 0x800, v91
	ds_read2_b64 v[61:64], v48 offset0:50 offset1:101
	ds_read2_b64 v[65:68], v48 offset0:152 offset1:203
	s_waitcnt lgkmcnt(4)
	v_mul_f32_e32 v73, v25, v52
	v_mul_f32_e32 v25, v25, v51
	v_fmac_f32_e32 v73, v24, v51
	v_fma_f32 v24, v24, v52, -v25
	s_waitcnt lgkmcnt(3)
	v_mul_f32_e32 v25, v27, v54
	v_mul_f32_e32 v27, v27, v53
	v_fmac_f32_e32 v25, v26, v53
	v_fma_f32 v26, v26, v54, -v27
	v_mul_f32_e32 v27, v17, v56
	v_mul_f32_e32 v17, v17, v55
	v_fmac_f32_e32 v27, v16, v55
	v_fma_f32 v16, v16, v56, -v17
	s_waitcnt lgkmcnt(2)
	v_mul_f32_e32 v17, v19, v58
	v_mul_f32_e32 v19, v19, v57
	v_add_u32_e32 v0, 0xc00, v91
	v_fmac_f32_e32 v17, v18, v57
	v_fma_f32 v18, v18, v58, -v19
	v_mul_f32_e32 v19, v13, v60
	v_mul_f32_e32 v13, v13, v59
	ds_read2_b64 v[69:72], v0 offset0:126 offset1:177
	ds_read_b64 v[0:1], v91 offset:4896
	v_fmac_f32_e32 v19, v12, v59
	v_fma_f32 v12, v12, v60, -v13
	s_waitcnt lgkmcnt(3)
	v_mul_f32_e32 v13, v15, v62
	v_mul_f32_e32 v15, v15, v61
	v_fmac_f32_e32 v13, v14, v61
	v_fma_f32 v14, v14, v62, -v15
	v_mul_f32_e32 v15, v9, v64
	v_mul_f32_e32 v9, v9, v63
	v_fmac_f32_e32 v15, v8, v63
	v_fma_f32 v51, v8, v64, -v9
	s_waitcnt lgkmcnt(2)
	v_mul_f32_e32 v52, v11, v66
	v_mul_f32_e32 v8, v11, v65
	v_fmac_f32_e32 v52, v10, v65
	v_fma_f32 v10, v10, v66, -v8
	v_mul_f32_e32 v11, v29, v68
	v_mul_f32_e32 v8, v29, v67
	;; [unrolled: 9-line block ×3, first 2 shown]
	s_waitcnt lgkmcnt(0)
	v_mul_f32_e32 v21, v23, v1
	v_fmac_f32_e32 v31, v20, v71
	v_fma_f32 v20, v20, v72, -v8
	v_fmac_f32_e32 v21, v22, v0
	v_mul_f32_e32 v0, v23, v0
	v_add_f32_e32 v8, v50, v24
	v_fma_f32 v0, v22, v1, -v0
	v_add_f32_e32 v1, v49, v73
	v_add_f32_e32 v8, v8, v26
	;; [unrolled: 1-line block ×23, first 2 shown]
	v_sub_f32_e32 v0, v24, v0
	v_add_f32_e32 v8, v1, v21
	v_add_f32_e32 v1, v73, v21
	v_sub_f32_e32 v21, v73, v21
	v_mul_f32_e32 v23, 0xbeedf032, v0
	v_mul_f32_e32 v53, 0x3f62ad3f, v22
	;; [unrolled: 1-line block ×12, first 2 shown]
	s_mov_b32 s14, 0x3f62ad3f
	v_mov_b32_e32 v24, v23
	s_mov_b32 s13, 0x3f116cb1
	v_mov_b32_e32 v56, v55
	;; [unrolled: 2-line block ×6, first 2 shown]
	v_mov_b32_e32 v72, v22
	v_fmac_f32_e32 v22, 0xbe750f2a, v21
	v_fmac_f32_e32 v24, 0x3f62ad3f, v1
	v_fma_f32 v23, v1, s14, -v23
	v_fmac_f32_e32 v56, 0x3f116cb1, v1
	v_fma_f32 v55, v1, s13, -v55
	;; [unrolled: 2-line block ×6, first 2 shown]
	v_add_f32_e32 v1, v50, v22
	v_add_f32_e32 v22, v26, v20
	v_sub_f32_e32 v20, v26, v20
	v_mov_b32_e32 v54, v53
	v_mov_b32_e32 v58, v57
	v_mov_b32_e32 v62, v61
	v_mov_b32_e32 v66, v65
	v_mov_b32_e32 v70, v69
	v_mul_f32_e32 v26, 0xbf52af12, v20
	v_fmac_f32_e32 v54, 0x3eedf032, v21
	v_fmac_f32_e32 v53, 0xbeedf032, v21
	;; [unrolled: 1-line block ×11, first 2 shown]
	v_add_f32_e32 v21, v25, v31
	v_sub_f32_e32 v25, v25, v31
	v_mov_b32_e32 v31, v26
	v_add_f32_e32 v24, v49, v24
	v_fmac_f32_e32 v31, 0x3f116cb1, v21
	v_add_f32_e32 v24, v31, v24
	v_mul_f32_e32 v31, 0x3f116cb1, v22
	v_add_f32_e32 v23, v49, v23
	v_add_f32_e32 v53, v50, v53
	;; [unrolled: 1-line block ×12, first 2 shown]
	v_mov_b32_e32 v49, v31
	v_fma_f32 v26, v21, s13, -v26
	v_fmac_f32_e32 v31, 0xbf52af12, v25
	v_add_f32_e32 v23, v26, v23
	v_add_f32_e32 v26, v31, v53
	v_mul_f32_e32 v31, 0xbf6f5d39, v20
	v_add_f32_e32 v54, v50, v54
	v_add_f32_e32 v58, v50, v58
	;; [unrolled: 1-line block ×10, first 2 shown]
	v_mov_b32_e32 v50, v31
	v_fma_f32 v31, v21, s15, -v31
	v_fmac_f32_e32 v49, 0x3f52af12, v25
	v_fmac_f32_e32 v50, 0xbeb58ec6, v21
	v_mul_f32_e32 v53, 0xbeb58ec6, v22
	v_add_f32_e32 v31, v31, v55
	v_mul_f32_e32 v55, 0xbe750f2a, v20
	v_add_f32_e32 v49, v49, v54
	v_add_f32_e32 v50, v50, v56
	v_mov_b32_e32 v54, v53
	v_fmac_f32_e32 v53, 0xbf6f5d39, v25
	v_mov_b32_e32 v56, v55
	v_fma_f32 v55, v21, s17, -v55
	v_fmac_f32_e32 v54, 0x3f6f5d39, v25
	v_add_f32_e32 v53, v53, v57
	v_fmac_f32_e32 v56, 0xbf788fa5, v21
	v_mul_f32_e32 v57, 0xbf788fa5, v22
	v_add_f32_e32 v55, v55, v59
	v_mul_f32_e32 v59, 0x3f29c268, v20
	v_add_f32_e32 v54, v54, v58
	v_add_f32_e32 v56, v56, v60
	v_mov_b32_e32 v58, v57
	v_fmac_f32_e32 v57, 0xbe750f2a, v25
	v_mov_b32_e32 v60, v59
	v_fma_f32 v59, v21, s16, -v59
	v_fmac_f32_e32 v58, 0x3e750f2a, v25
	v_add_f32_e32 v57, v57, v61
	v_fmac_f32_e32 v60, 0xbf3f9e67, v21
	v_mul_f32_e32 v61, 0xbf3f9e67, v22
	v_add_f32_e32 v59, v59, v63
	v_mul_f32_e32 v63, 0x3f7e222b, v20
	v_add_f32_e32 v58, v58, v62
	v_add_f32_e32 v60, v60, v64
	v_mov_b32_e32 v62, v61
	v_fmac_f32_e32 v61, 0x3f29c268, v25
	v_mov_b32_e32 v64, v63
	v_fma_f32 v63, v21, s12, -v63
	v_mul_f32_e32 v20, 0x3eedf032, v20
	v_fmac_f32_e32 v62, 0xbf29c268, v25
	v_add_f32_e32 v61, v61, v65
	v_fmac_f32_e32 v64, 0x3df6dbef, v21
	v_mul_f32_e32 v65, 0x3df6dbef, v22
	v_add_f32_e32 v63, v63, v67
	v_mov_b32_e32 v67, v20
	v_mul_f32_e32 v22, 0x3f62ad3f, v22
	v_add_f32_e32 v62, v62, v66
	v_add_f32_e32 v64, v64, v68
	v_mov_b32_e32 v66, v65
	v_fmac_f32_e32 v67, 0x3f62ad3f, v21
	v_mov_b32_e32 v68, v22
	v_fma_f32 v20, v21, s14, -v20
	v_add_f32_e32 v21, v16, v30
	v_sub_f32_e32 v16, v16, v30
	v_fmac_f32_e32 v66, 0xbf7e222b, v25
	v_fmac_f32_e32 v65, 0x3f7e222b, v25
	;; [unrolled: 1-line block ×4, first 2 shown]
	v_mul_f32_e32 v25, 0xbf7e222b, v16
	v_add_f32_e32 v0, v20, v0
	v_add_f32_e32 v1, v22, v1
	;; [unrolled: 1-line block ×3, first 2 shown]
	v_sub_f32_e32 v22, v27, v29
	v_mov_b32_e32 v27, v25
	v_fmac_f32_e32 v27, 0x3df6dbef, v20
	v_add_f32_e32 v24, v27, v24
	v_mul_f32_e32 v27, 0x3df6dbef, v21
	v_mov_b32_e32 v29, v27
	v_fma_f32 v25, v20, s12, -v25
	v_fmac_f32_e32 v27, 0xbf7e222b, v22
	v_add_f32_e32 v23, v25, v23
	v_add_f32_e32 v25, v27, v26
	v_mul_f32_e32 v26, 0xbe750f2a, v16
	v_mov_b32_e32 v27, v26
	v_fma_f32 v26, v20, s17, -v26
	v_fmac_f32_e32 v27, 0xbf788fa5, v20
	v_add_f32_e32 v26, v26, v31
	v_mul_f32_e32 v31, 0x3f6f5d39, v16
	v_fmac_f32_e32 v29, 0x3f7e222b, v22
	v_add_f32_e32 v27, v27, v50
	v_mul_f32_e32 v30, 0xbf788fa5, v21
	v_mov_b32_e32 v50, v31
	v_fma_f32 v31, v20, s15, -v31
	v_add_f32_e32 v29, v29, v49
	v_mov_b32_e32 v49, v30
	v_fmac_f32_e32 v30, 0xbe750f2a, v22
	v_fmac_f32_e32 v50, 0xbeb58ec6, v20
	v_add_f32_e32 v31, v31, v55
	v_mul_f32_e32 v55, 0x3eedf032, v16
	v_fmac_f32_e32 v49, 0x3e750f2a, v22
	v_add_f32_e32 v30, v30, v53
	v_add_f32_e32 v50, v50, v56
	v_mul_f32_e32 v53, 0xbeb58ec6, v21
	v_mov_b32_e32 v56, v55
	v_fma_f32 v55, v20, s14, -v55
	v_add_f32_e32 v49, v49, v54
	v_mov_b32_e32 v54, v53
	v_fmac_f32_e32 v53, 0x3f6f5d39, v22
	v_fmac_f32_e32 v56, 0x3f62ad3f, v20
	v_add_f32_e32 v55, v55, v59
	v_mul_f32_e32 v59, 0xbf52af12, v16
	v_fmac_f32_e32 v54, 0xbf6f5d39, v22
	v_add_f32_e32 v53, v53, v57
	v_add_f32_e32 v56, v56, v60
	v_mul_f32_e32 v57, 0x3f62ad3f, v21
	v_mov_b32_e32 v60, v59
	v_fma_f32 v59, v20, s13, -v59
	v_mul_f32_e32 v16, 0xbf29c268, v16
	v_add_f32_e32 v54, v54, v58
	v_mov_b32_e32 v58, v57
	v_fmac_f32_e32 v57, 0x3eedf032, v22
	v_add_f32_e32 v59, v59, v63
	v_mov_b32_e32 v63, v16
	v_fma_f32 v16, v20, s16, -v16
	v_add_f32_e32 v57, v57, v61
	v_fmac_f32_e32 v60, 0x3f116cb1, v20
	v_mul_f32_e32 v61, 0x3f116cb1, v21
	v_mul_f32_e32 v21, 0xbf3f9e67, v21
	v_add_f32_e32 v0, v16, v0
	v_add_f32_e32 v16, v17, v11
	v_sub_f32_e32 v11, v17, v11
	v_sub_f32_e32 v17, v18, v28
	v_fmac_f32_e32 v58, 0xbeedf032, v22
	v_add_f32_e32 v60, v60, v64
	v_fmac_f32_e32 v63, 0xbf3f9e67, v20
	v_mov_b32_e32 v64, v21
	v_fmac_f32_e32 v21, 0xbf29c268, v22
	v_add_f32_e32 v20, v18, v28
	v_mul_f32_e32 v18, 0xbf6f5d39, v17
	v_add_f32_e32 v58, v58, v62
	v_mov_b32_e32 v62, v61
	v_add_f32_e32 v1, v21, v1
	v_mov_b32_e32 v21, v18
	v_fmac_f32_e32 v62, 0x3f52af12, v22
	v_fmac_f32_e32 v61, 0xbf52af12, v22
	;; [unrolled: 1-line block ×4, first 2 shown]
	v_mul_f32_e32 v22, 0xbeb58ec6, v20
	v_fma_f32 v18, v16, s15, -v18
	v_add_f32_e32 v21, v21, v24
	v_mov_b32_e32 v24, v22
	v_add_f32_e32 v18, v18, v23
	v_fmac_f32_e32 v22, 0xbf6f5d39, v11
	v_mul_f32_e32 v23, 0x3f29c268, v17
	v_add_f32_e32 v22, v22, v25
	v_mov_b32_e32 v25, v23
	v_fmac_f32_e32 v25, 0xbf3f9e67, v16
	v_add_f32_e32 v25, v25, v27
	v_mul_f32_e32 v27, 0xbf3f9e67, v20
	v_mov_b32_e32 v28, v27
	v_fma_f32 v23, v16, s16, -v23
	v_fmac_f32_e32 v27, 0x3f29c268, v11
	v_fmac_f32_e32 v24, 0x3f6f5d39, v11
	v_add_f32_e32 v23, v23, v26
	v_add_f32_e32 v26, v27, v30
	v_mul_f32_e32 v27, 0x3eedf032, v17
	v_add_f32_e32 v24, v24, v29
	v_mov_b32_e32 v29, v27
	v_fma_f32 v27, v16, s14, -v27
	v_fmac_f32_e32 v29, 0x3f62ad3f, v16
	v_add_f32_e32 v27, v27, v31
	v_mul_f32_e32 v31, 0xbf7e222b, v17
	v_add_f32_e32 v29, v29, v50
	v_mov_b32_e32 v50, v31
	v_fma_f32 v31, v16, s12, -v31
	v_fmac_f32_e32 v28, 0xbf29c268, v11
	v_mul_f32_e32 v30, 0x3f62ad3f, v20
	v_fmac_f32_e32 v50, 0x3df6dbef, v16
	v_add_f32_e32 v31, v31, v55
	v_mul_f32_e32 v55, 0x3e750f2a, v17
	v_add_f32_e32 v28, v28, v49
	v_mov_b32_e32 v49, v30
	v_fmac_f32_e32 v30, 0x3eedf032, v11
	v_add_f32_e32 v50, v50, v56
	v_mov_b32_e32 v56, v55
	v_fma_f32 v55, v16, s17, -v55
	v_mul_f32_e32 v17, 0x3f52af12, v17
	v_fmac_f32_e32 v49, 0xbeedf032, v11
	v_add_f32_e32 v30, v30, v53
	v_mul_f32_e32 v53, 0x3df6dbef, v20
	v_add_f32_e32 v55, v55, v59
	v_mov_b32_e32 v59, v17
	v_add_f32_e32 v49, v49, v54
	v_mov_b32_e32 v54, v53
	v_fmac_f32_e32 v53, 0xbf7e222b, v11
	v_fmac_f32_e32 v56, 0xbf788fa5, v16
	;; [unrolled: 1-line block ×3, first 2 shown]
	v_fma_f32 v16, v16, s13, -v17
	v_fmac_f32_e32 v54, 0x3f7e222b, v11
	v_add_f32_e32 v53, v53, v57
	v_mul_f32_e32 v57, 0xbf788fa5, v20
	v_mul_f32_e32 v20, 0x3f116cb1, v20
	v_add_f32_e32 v0, v16, v0
	v_add_f32_e32 v16, v12, v10
	v_sub_f32_e32 v10, v12, v10
	v_add_f32_e32 v54, v54, v58
	v_add_f32_e32 v56, v56, v60
	v_mov_b32_e32 v58, v57
	v_mov_b32_e32 v60, v20
	v_mul_f32_e32 v12, 0xbf29c268, v10
	v_fmac_f32_e32 v58, 0xbe750f2a, v11
	v_fmac_f32_e32 v57, 0x3e750f2a, v11
	;; [unrolled: 1-line block ×4, first 2 shown]
	v_add_f32_e32 v11, v19, v52
	v_sub_f32_e32 v17, v19, v52
	v_mov_b32_e32 v19, v12
	v_add_f32_e32 v1, v20, v1
	v_fmac_f32_e32 v19, 0xbf3f9e67, v11
	v_mul_f32_e32 v20, 0xbf3f9e67, v16
	v_add_f32_e32 v19, v19, v21
	v_mov_b32_e32 v21, v20
	v_fma_f32 v12, v11, s16, -v12
	v_fmac_f32_e32 v20, 0xbf29c268, v17
	v_add_f32_e32 v12, v12, v18
	v_add_f32_e32 v18, v20, v22
	v_mul_f32_e32 v20, 0x3f7e222b, v10
	v_fmac_f32_e32 v21, 0x3f29c268, v17
	v_mov_b32_e32 v22, v20
	v_add_f32_e32 v21, v21, v24
	v_fmac_f32_e32 v22, 0x3df6dbef, v11
	v_mul_f32_e32 v24, 0x3df6dbef, v16
	v_add_f32_e32 v22, v22, v25
	v_mov_b32_e32 v25, v24
	v_fma_f32 v20, v11, s12, -v20
	v_fmac_f32_e32 v24, 0x3f7e222b, v17
	v_add_f32_e32 v20, v20, v23
	v_add_f32_e32 v23, v24, v26
	v_mul_f32_e32 v24, 0xbf52af12, v10
	v_fmac_f32_e32 v25, 0xbf7e222b, v17
	;; [unrolled: 12-line block ×3, first 2 shown]
	v_mov_b32_e32 v30, v28
	v_add_f32_e32 v29, v29, v49
	v_fmac_f32_e32 v30, 0xbf788fa5, v11
	v_mul_f32_e32 v49, 0xbf788fa5, v16
	v_add_f32_e32 v30, v30, v50
	v_mov_b32_e32 v50, v49
	v_fma_f32 v28, v11, s17, -v28
	v_fmac_f32_e32 v49, 0x3e750f2a, v17
	v_add_f32_e32 v28, v28, v31
	v_add_f32_e32 v31, v49, v53
	v_mul_f32_e32 v49, 0x3eedf032, v10
	v_mov_b32_e32 v52, v49
	v_add_f32_e32 v68, v68, v72
	v_fmac_f32_e32 v52, 0x3f62ad3f, v11
	v_mul_f32_e32 v53, 0x3f62ad3f, v16
	v_mul_f32_e32 v16, 0xbeb58ec6, v16
	v_add_f32_e32 v65, v65, v69
	v_add_f32_e32 v64, v64, v68
	;; [unrolled: 1-line block ×3, first 2 shown]
	v_mov_b32_e32 v56, v16
	v_add_f32_e32 v66, v66, v70
	v_add_f32_e32 v67, v67, v71
	;; [unrolled: 1-line block ×4, first 2 shown]
	v_fmac_f32_e32 v50, 0xbe750f2a, v17
	v_fma_f32 v49, v11, s14, -v49
	v_mul_f32_e32 v10, 0xbf6f5d39, v10
	v_fmac_f32_e32 v56, 0x3f6f5d39, v17
	v_add_f32_e32 v62, v62, v66
	v_add_f32_e32 v63, v63, v67
	v_add_f32_e32 v57, v57, v61
	v_add_f32_e32 v50, v50, v54
	v_mov_b32_e32 v54, v53
	v_add_f32_e32 v49, v49, v55
	v_fmac_f32_e32 v53, 0x3eedf032, v17
	v_mov_b32_e32 v55, v10
	v_add_f32_e32 v56, v56, v60
	v_fma_f32 v10, v11, s15, -v10
	v_add_f32_e32 v60, v14, v51
	v_sub_f32_e32 v51, v14, v51
	v_add_f32_e32 v58, v58, v62
	v_add_f32_e32 v59, v59, v63
	v_fmac_f32_e32 v54, 0xbeedf032, v17
	v_add_f32_e32 v53, v53, v57
	v_fmac_f32_e32 v55, 0xbeb58ec6, v11
	v_add_f32_e32 v57, v10, v0
	v_fmac_f32_e32 v16, 0xbf6f5d39, v17
	v_mul_f32_e32 v0, 0xbe750f2a, v51
	v_add_f32_e32 v54, v54, v58
	v_add_f32_e32 v55, v55, v59
	;; [unrolled: 1-line block ×4, first 2 shown]
	v_mov_b32_e32 v1, v0
	v_fmac_f32_e32 v1, 0xbf788fa5, v59
	v_fma_f32 v0, v59, s17, -v0
	v_mul_f32_e32 v14, 0x3eedf032, v51
	v_sub_f32_e32 v61, v13, v15
	v_add_f32_e32 v10, v1, v19
	v_mul_f32_e32 v1, 0xbf788fa5, v60
	v_add_f32_e32 v0, v0, v12
	v_mov_b32_e32 v12, v14
	v_mov_b32_e32 v11, v1
	v_fmac_f32_e32 v1, 0xbe750f2a, v61
	v_fmac_f32_e32 v12, 0x3f62ad3f, v59
	v_mul_f32_e32 v15, 0x3f62ad3f, v60
	v_add_f32_e32 v1, v1, v18
	v_add_f32_e32 v12, v12, v22
	v_mov_b32_e32 v13, v15
	v_fma_f32 v14, v59, s14, -v14
	v_fmac_f32_e32 v15, 0x3eedf032, v61
	v_mul_f32_e32 v18, 0xbf29c268, v51
	v_mul_f32_e32 v22, 0x3f52af12, v51
	v_fmac_f32_e32 v11, 0x3e750f2a, v61
	v_add_f32_e32 v14, v14, v20
	v_add_f32_e32 v15, v15, v23
	v_mov_b32_e32 v16, v18
	v_mul_f32_e32 v19, 0xbf3f9e67, v60
	v_mov_b32_e32 v20, v22
	v_mul_f32_e32 v23, 0x3f116cb1, v60
	v_add_f32_e32 v11, v11, v21
	v_fmac_f32_e32 v16, 0xbf3f9e67, v59
	v_mov_b32_e32 v17, v19
	v_fmac_f32_e32 v19, 0xbf29c268, v61
	v_fmac_f32_e32 v20, 0x3f116cb1, v59
	v_mov_b32_e32 v21, v23
	v_fmac_f32_e32 v23, 0x3f52af12, v61
	v_fmac_f32_e32 v13, 0xbeedf032, v61
	v_add_f32_e32 v16, v16, v26
	v_fmac_f32_e32 v17, 0x3f29c268, v61
	v_fma_f32 v18, v59, s16, -v18
	v_add_f32_e32 v19, v19, v27
	v_add_f32_e32 v20, v20, v30
	v_fma_f32 v22, v59, s13, -v22
	v_add_f32_e32 v23, v23, v31
	v_mul_f32_e32 v26, 0xbf6f5d39, v51
	v_mul_f32_e32 v27, 0xbeb58ec6, v60
	;; [unrolled: 1-line block ×4, first 2 shown]
	v_add_f32_e32 v13, v13, v25
	v_add_f32_e32 v17, v17, v29
	v_add_f32_e32 v18, v18, v24
	v_add_f32_e32 v22, v22, v28
	v_mov_b32_e32 v24, v26
	v_mov_b32_e32 v25, v27
	;; [unrolled: 1-line block ×4, first 2 shown]
	v_fmac_f32_e32 v21, 0xbf52af12, v61
	v_fmac_f32_e32 v24, 0xbeb58ec6, v59
	;; [unrolled: 1-line block ×3, first 2 shown]
	v_fma_f32 v26, v59, s15, -v26
	v_fmac_f32_e32 v27, 0xbf6f5d39, v61
	v_fmac_f32_e32 v28, 0x3df6dbef, v59
	;; [unrolled: 1-line block ×3, first 2 shown]
	v_fma_f32 v30, v59, s12, -v30
	v_fmac_f32_e32 v31, 0x3f7e222b, v61
	v_add_f32_e32 v21, v21, v50
	v_add_f32_e32 v24, v24, v52
	;; [unrolled: 1-line block ×9, first 2 shown]
	v_add_u32_e32 v50, 0x400, v91
	s_waitcnt lgkmcnt(0)
	; wave barrier
	ds_write2_b64 v93, v[8:9], v[10:11] offset1:17
	ds_write2_b64 v93, v[12:13], v[16:17] offset0:34 offset1:51
	ds_write2_b64 v93, v[20:21], v[24:25] offset0:68 offset1:85
	ds_write2_b64 v93, v[28:29], v[30:31] offset0:102 offset1:119
	ds_write2_b64 v93, v[26:27], v[22:23] offset0:136 offset1:153
	ds_write2_b64 v93, v[18:19], v[14:15] offset0:170 offset1:187
	ds_write_b64 v93, v[0:1] offset:1632
	s_waitcnt lgkmcnt(0)
	; wave barrier
	s_waitcnt lgkmcnt(0)
	ds_read2_b64 v[12:15], v91 offset1:51
	ds_read2_b64 v[28:31], v50 offset0:93 offset1:144
	ds_read2_b64 v[24:27], v48 offset0:186 offset1:237
	;; [unrolled: 1-line block ×4, first 2 shown]
	v_add_u32_e32 v49, 0x1000, v91
	ds_read2_b64 v[16:19], v49 offset0:32 offset1:83
	s_and_saveexec_b64 s[12:13], s[2:3]
	s_cbranch_execz .LBB0_19
; %bb.18:
	v_add_u32_e32 v0, 0x600, v91
	ds_read2_b64 v[0:3], v0 offset0:12 offset1:233
	ds_read_b64 v[81:82], v91 offset:5168
.LBB0_19:
	s_or_b64 exec, exec, s[12:13]
	s_waitcnt lgkmcnt(4)
	v_mul_f32_e32 v51, v33, v29
	v_fmac_f32_e32 v51, v32, v28
	v_mul_f32_e32 v28, v33, v28
	v_fma_f32 v28, v32, v29, -v28
	s_waitcnt lgkmcnt(3)
	v_mul_f32_e32 v29, v35, v25
	v_fmac_f32_e32 v29, v34, v24
	v_mul_f32_e32 v24, v35, v24
	v_fma_f32 v24, v34, v25, -v24
	v_mul_f32_e32 v25, v37, v31
	s_waitcnt lgkmcnt(0)
	v_mul_f32_e32 v33, v43, v17
	v_fmac_f32_e32 v25, v36, v30
	v_mul_f32_e32 v30, v37, v30
	v_fmac_f32_e32 v33, v42, v16
	v_mul_f32_e32 v16, v43, v16
	v_fma_f32 v30, v36, v31, -v30
	v_mul_f32_e32 v31, v39, v27
	v_fma_f32 v34, v42, v17, -v16
	v_mul_f32_e32 v16, v45, v22
	v_fmac_f32_e32 v31, v38, v26
	v_mul_f32_e32 v26, v39, v26
	v_fma_f32 v36, v44, v23, -v16
	v_mul_f32_e32 v16, v47, v18
	v_add_f32_e32 v17, v51, v29
	v_fma_f32 v26, v38, v27, -v26
	v_mul_f32_e32 v37, v47, v19
	v_fma_f32 v38, v46, v19, -v16
	v_add_f32_e32 v16, v12, v51
	v_fma_f32 v12, -0.5, v17, v12
	v_mul_f32_e32 v27, v41, v21
	v_fmac_f32_e32 v37, v46, v18
	v_sub_f32_e32 v17, v28, v24
	v_mov_b32_e32 v18, v12
	v_add_f32_e32 v19, v28, v24
	v_fmac_f32_e32 v27, v40, v20
	v_mul_f32_e32 v20, v41, v20
	v_fmac_f32_e32 v18, 0xbf5db3d7, v17
	v_fmac_f32_e32 v12, 0x3f5db3d7, v17
	v_add_f32_e32 v17, v13, v28
	v_fma_f32 v13, -0.5, v19, v13
	v_fma_f32 v32, v40, v21, -v20
	v_sub_f32_e32 v20, v51, v29
	v_mov_b32_e32 v19, v13
	v_add_f32_e32 v21, v25, v31
	v_mul_f32_e32 v35, v45, v23
	v_fmac_f32_e32 v19, 0x3f5db3d7, v20
	v_fmac_f32_e32 v13, 0xbf5db3d7, v20
	v_add_f32_e32 v20, v14, v25
	v_fma_f32 v14, -0.5, v21, v14
	v_fmac_f32_e32 v35, v44, v22
	v_sub_f32_e32 v21, v30, v26
	v_mov_b32_e32 v22, v14
	v_add_f32_e32 v23, v30, v26
	v_fmac_f32_e32 v22, 0xbf5db3d7, v21
	v_fmac_f32_e32 v14, 0x3f5db3d7, v21
	v_add_f32_e32 v21, v15, v30
	v_fmac_f32_e32 v15, -0.5, v23
	v_add_f32_e32 v17, v17, v24
	v_sub_f32_e32 v24, v25, v31
	v_mov_b32_e32 v23, v15
	v_add_f32_e32 v25, v27, v33
	v_fmac_f32_e32 v23, 0x3f5db3d7, v24
	v_fmac_f32_e32 v15, 0xbf5db3d7, v24
	v_add_f32_e32 v24, v8, v27
	v_fma_f32 v8, -0.5, v25, v8
	v_add_f32_e32 v21, v21, v26
	v_sub_f32_e32 v25, v32, v34
	v_mov_b32_e32 v26, v8
	v_add_f32_e32 v28, v32, v34
	v_fmac_f32_e32 v26, 0xbf5db3d7, v25
	v_fmac_f32_e32 v8, 0x3f5db3d7, v25
	v_add_f32_e32 v25, v9, v32
	v_fma_f32 v9, -0.5, v28, v9
	;; [unrolled: 8-line block ×3, first 2 shown]
	v_add_f32_e32 v20, v20, v31
	v_sub_f32_e32 v29, v36, v38
	v_mov_b32_e32 v30, v10
	v_add_f32_e32 v31, v36, v38
	v_fmac_f32_e32 v30, 0xbf5db3d7, v29
	v_fmac_f32_e32 v10, 0x3f5db3d7, v29
	v_add_f32_e32 v29, v11, v36
	v_fmac_f32_e32 v11, -0.5, v31
	v_sub_f32_e32 v32, v35, v37
	v_mov_b32_e32 v31, v11
	v_add_f32_e32 v24, v24, v33
	v_add_f32_e32 v25, v25, v34
	;; [unrolled: 1-line block ×4, first 2 shown]
	v_fmac_f32_e32 v31, 0x3f5db3d7, v32
	v_fmac_f32_e32 v11, 0xbf5db3d7, v32
	ds_write2_b64 v91, v[16:17], v[20:21] offset1:51
	ds_write2_b64 v50, v[18:19], v[22:23] offset0:93 offset1:144
	ds_write2_b64 v48, v[12:13], v[14:15] offset0:186 offset1:237
	;; [unrolled: 1-line block ×5, first 2 shown]
	s_and_saveexec_b64 s[12:13], s[2:3]
	s_cbranch_execz .LBB0_21
; %bb.20:
	v_mul_f32_e32 v8, v5, v2
	v_fma_f32 v9, v4, v3, -v8
	v_mul_f32_e32 v8, v7, v81
	v_fma_f32 v10, v6, v82, -v8
	v_add_f32_e32 v8, v9, v10
	v_mul_f32_e32 v3, v5, v3
	v_mul_f32_e32 v5, v7, v82
	v_fma_f32 v8, -0.5, v8, v1
	v_fmac_f32_e32 v3, v4, v2
	v_fmac_f32_e32 v5, v6, v81
	v_sub_f32_e32 v4, v3, v5
	v_mov_b32_e32 v2, v8
	v_add_f32_e32 v1, v1, v9
	v_fmac_f32_e32 v2, 0xbf5db3d7, v4
	v_fmac_f32_e32 v8, 0x3f5db3d7, v4
	v_add_f32_e32 v4, v1, v10
	v_add_f32_e32 v1, v3, v5
	v_fma_f32 v7, -0.5, v1, v0
	v_sub_f32_e32 v6, v9, v10
	v_add_f32_e32 v0, v0, v3
	v_mov_b32_e32 v1, v7
	v_fmac_f32_e32 v7, 0xbf5db3d7, v6
	v_add_f32_e32 v3, v0, v5
	v_add_u32_e32 v0, 0x600, v91
	v_fmac_f32_e32 v1, 0x3f5db3d7, v6
	ds_write2_b64 v0, v[3:4], v[7:8] offset0:12 offset1:233
	ds_write_b64 v91, v[1:2] offset:5168
.LBB0_21:
	s_or_b64 exec, exec, s[12:13]
	s_waitcnt lgkmcnt(0)
	; wave barrier
	s_waitcnt lgkmcnt(0)
	s_and_b64 exec, exec, s[0:1]
	s_cbranch_execz .LBB0_23
; %bb.22:
	global_load_dwordx2 v[0:1], v91, s[8:9]
	ds_read_b64 v[2:3], v91
	v_mad_u64_u32 v[4:5], s[0:1], s6, v76, 0
	v_mad_u64_u32 v[6:7], s[0:1], s4, v92, 0
	s_mov_b32 s0, 0x18b64019
	s_mov_b32 s1, 0x3f58b640
	v_mad_u64_u32 v[8:9], s[2:3], s7, v76, v[5:6]
	v_mov_b32_e32 v11, s11
	v_mad_u64_u32 v[9:10], s[2:3], s5, v92, v[7:8]
	s_mul_i32 s3, s5, 0x138
	s_mul_hi_u32 s5, s4, 0x138
	v_mov_b32_e32 v7, v9
	v_lshlrev_b64 v[6:7], 3, v[6:7]
	s_mul_i32 s2, s4, 0x138
	s_add_i32 s3, s5, s3
	s_movk_i32 s4, 0x1000
	s_waitcnt vmcnt(0) lgkmcnt(0)
	v_mul_f32_e32 v5, v3, v1
	v_mul_f32_e32 v1, v2, v1
	v_fmac_f32_e32 v5, v2, v0
	v_fma_f32 v2, v0, v3, -v1
	v_cvt_f64_f32_e32 v[0:1], v5
	v_cvt_f64_f32_e32 v[2:3], v2
	v_mov_b32_e32 v5, v8
	v_lshlrev_b64 v[4:5], 3, v[4:5]
	v_mul_f64 v[0:1], v[0:1], s[0:1]
	v_mul_f64 v[2:3], v[2:3], s[0:1]
	v_add_co_u32_e32 v4, vcc, s10, v4
	v_addc_co_u32_e32 v5, vcc, v11, v5, vcc
	v_add_co_u32_e32 v4, vcc, v4, v6
	v_cvt_f32_f64_e32 v0, v[0:1]
	v_cvt_f32_f64_e32 v1, v[2:3]
	v_addc_co_u32_e32 v5, vcc, v5, v7, vcc
	v_mov_b32_e32 v11, s3
	global_store_dwordx2 v[4:5], v[0:1], off
	global_load_dwordx2 v[6:7], v91, s[8:9] offset:312
	ds_read2_b64 v[0:3], v91 offset0:39 offset1:78
	v_add_co_u32_e32 v4, vcc, s2, v4
	s_waitcnt vmcnt(0) lgkmcnt(0)
	v_mul_f32_e32 v8, v1, v7
	v_mul_f32_e32 v7, v0, v7
	v_fmac_f32_e32 v8, v0, v6
	v_fma_f32 v6, v6, v1, -v7
	v_cvt_f64_f32_e32 v[0:1], v8
	v_cvt_f64_f32_e32 v[6:7], v6
	v_mov_b32_e32 v8, s3
	v_addc_co_u32_e32 v5, vcc, v5, v8, vcc
	v_mul_f64 v[0:1], v[0:1], s[0:1]
	v_mul_f64 v[6:7], v[6:7], s[0:1]
	v_cvt_f32_f64_e32 v0, v[0:1]
	v_cvt_f32_f64_e32 v1, v[6:7]
	global_store_dwordx2 v[4:5], v[0:1], off
	global_load_dwordx2 v[0:1], v91, s[8:9] offset:624
	v_add_co_u32_e32 v4, vcc, s2, v4
	s_waitcnt vmcnt(0)
	v_mul_f32_e32 v6, v3, v1
	v_mul_f32_e32 v1, v2, v1
	v_fmac_f32_e32 v6, v2, v0
	v_fma_f32 v2, v0, v3, -v1
	v_cvt_f64_f32_e32 v[0:1], v6
	v_cvt_f64_f32_e32 v[2:3], v2
	v_mov_b32_e32 v6, s3
	v_addc_co_u32_e32 v5, vcc, v5, v6, vcc
	v_mul_f64 v[0:1], v[0:1], s[0:1]
	v_mul_f64 v[2:3], v[2:3], s[0:1]
	v_cvt_f32_f64_e32 v0, v[0:1]
	v_cvt_f32_f64_e32 v1, v[2:3]
	global_store_dwordx2 v[4:5], v[0:1], off
	global_load_dwordx2 v[6:7], v91, s[8:9] offset:936
	ds_read2_b64 v[0:3], v91 offset0:117 offset1:156
	v_add_co_u32_e32 v4, vcc, s2, v4
	s_waitcnt vmcnt(0) lgkmcnt(0)
	v_mul_f32_e32 v8, v1, v7
	v_mul_f32_e32 v7, v0, v7
	v_fmac_f32_e32 v8, v0, v6
	v_fma_f32 v6, v6, v1, -v7
	v_cvt_f64_f32_e32 v[0:1], v8
	v_cvt_f64_f32_e32 v[6:7], v6
	v_mov_b32_e32 v8, s3
	v_addc_co_u32_e32 v5, vcc, v5, v8, vcc
	v_mul_f64 v[0:1], v[0:1], s[0:1]
	v_mul_f64 v[6:7], v[6:7], s[0:1]
	v_cvt_f32_f64_e32 v0, v[0:1]
	v_cvt_f32_f64_e32 v1, v[6:7]
	global_store_dwordx2 v[4:5], v[0:1], off
	global_load_dwordx2 v[0:1], v91, s[8:9] offset:1248
	v_add_co_u32_e32 v4, vcc, s2, v4
	s_waitcnt vmcnt(0)
	v_mul_f32_e32 v6, v3, v1
	v_mul_f32_e32 v1, v2, v1
	v_fmac_f32_e32 v6, v2, v0
	v_fma_f32 v2, v0, v3, -v1
	v_cvt_f64_f32_e32 v[0:1], v6
	v_cvt_f64_f32_e32 v[2:3], v2
	v_mov_b32_e32 v6, s3
	v_addc_co_u32_e32 v5, vcc, v5, v6, vcc
	v_mul_f64 v[0:1], v[0:1], s[0:1]
	v_mul_f64 v[2:3], v[2:3], s[0:1]
	v_cvt_f32_f64_e32 v0, v[0:1]
	v_cvt_f32_f64_e32 v1, v[2:3]
	global_store_dwordx2 v[4:5], v[0:1], off
	global_load_dwordx2 v[6:7], v91, s[8:9] offset:1560
	ds_read2_b64 v[0:3], v91 offset0:195 offset1:234
	v_add_co_u32_e32 v4, vcc, s2, v4
	s_waitcnt vmcnt(0) lgkmcnt(0)
	v_mul_f32_e32 v8, v1, v7
	v_mul_f32_e32 v7, v0, v7
	v_fmac_f32_e32 v8, v0, v6
	v_fma_f32 v6, v6, v1, -v7
	v_cvt_f64_f32_e32 v[0:1], v8
	v_cvt_f64_f32_e32 v[6:7], v6
	v_mov_b32_e32 v8, s3
	v_addc_co_u32_e32 v5, vcc, v5, v8, vcc
	v_mul_f64 v[0:1], v[0:1], s[0:1]
	v_mul_f64 v[6:7], v[6:7], s[0:1]
	v_add_u32_e32 v8, 0x800, v91
	v_cvt_f32_f64_e32 v0, v[0:1]
	v_cvt_f32_f64_e32 v1, v[6:7]
	global_store_dwordx2 v[4:5], v[0:1], off
	global_load_dwordx2 v[0:1], v91, s[8:9] offset:1872
	v_add_co_u32_e32 v4, vcc, s2, v4
	s_waitcnt vmcnt(0)
	v_mul_f32_e32 v6, v3, v1
	v_mul_f32_e32 v1, v2, v1
	v_fmac_f32_e32 v6, v2, v0
	v_fma_f32 v2, v0, v3, -v1
	v_cvt_f64_f32_e32 v[0:1], v6
	v_cvt_f64_f32_e32 v[2:3], v2
	v_mov_b32_e32 v6, s3
	v_addc_co_u32_e32 v5, vcc, v5, v6, vcc
	v_mul_f64 v[0:1], v[0:1], s[0:1]
	v_mul_f64 v[2:3], v[2:3], s[0:1]
	v_cvt_f32_f64_e32 v0, v[0:1]
	v_cvt_f32_f64_e32 v1, v[2:3]
	global_store_dwordx2 v[4:5], v[0:1], off
	global_load_dwordx2 v[6:7], v91, s[8:9] offset:2184
	ds_read2_b64 v[0:3], v8 offset0:17 offset1:56
	v_add_co_u32_e32 v4, vcc, s2, v4
	s_waitcnt vmcnt(0) lgkmcnt(0)
	v_mul_f32_e32 v9, v1, v7
	v_mul_f32_e32 v7, v0, v7
	v_fmac_f32_e32 v9, v0, v6
	v_fma_f32 v6, v6, v1, -v7
	v_cvt_f64_f32_e32 v[0:1], v9
	v_cvt_f64_f32_e32 v[6:7], v6
	v_mov_b32_e32 v9, s3
	v_addc_co_u32_e32 v5, vcc, v5, v9, vcc
	v_mul_f64 v[0:1], v[0:1], s[0:1]
	v_mul_f64 v[6:7], v[6:7], s[0:1]
	v_cvt_f32_f64_e32 v0, v[0:1]
	v_cvt_f32_f64_e32 v1, v[6:7]
	global_store_dwordx2 v[4:5], v[0:1], off
	global_load_dwordx2 v[0:1], v91, s[8:9] offset:2496
	v_add_co_u32_e32 v4, vcc, s2, v4
	s_waitcnt vmcnt(0)
	v_mul_f32_e32 v6, v3, v1
	v_mul_f32_e32 v1, v2, v1
	v_fmac_f32_e32 v6, v2, v0
	v_fma_f32 v2, v0, v3, -v1
	v_cvt_f64_f32_e32 v[0:1], v6
	v_cvt_f64_f32_e32 v[2:3], v2
	v_mov_b32_e32 v6, s3
	v_addc_co_u32_e32 v5, vcc, v5, v6, vcc
	v_mul_f64 v[0:1], v[0:1], s[0:1]
	v_mul_f64 v[2:3], v[2:3], s[0:1]
	v_cvt_f32_f64_e32 v0, v[0:1]
	v_cvt_f32_f64_e32 v1, v[2:3]
	global_store_dwordx2 v[4:5], v[0:1], off
	global_load_dwordx2 v[6:7], v91, s[8:9] offset:2808
	ds_read2_b64 v[0:3], v8 offset0:95 offset1:134
	v_add_co_u32_e32 v4, vcc, s2, v4
	s_waitcnt vmcnt(0) lgkmcnt(0)
	v_mul_f32_e32 v9, v1, v7
	v_mul_f32_e32 v7, v0, v7
	v_fmac_f32_e32 v9, v0, v6
	v_fma_f32 v6, v6, v1, -v7
	v_cvt_f64_f32_e32 v[0:1], v9
	v_cvt_f64_f32_e32 v[6:7], v6
	v_mov_b32_e32 v9, s3
	v_addc_co_u32_e32 v5, vcc, v5, v9, vcc
	v_mul_f64 v[0:1], v[0:1], s[0:1]
	v_mul_f64 v[6:7], v[6:7], s[0:1]
	v_cvt_f32_f64_e32 v0, v[0:1]
	v_cvt_f32_f64_e32 v1, v[6:7]
	global_store_dwordx2 v[4:5], v[0:1], off
	global_load_dwordx2 v[0:1], v91, s[8:9] offset:3120
	v_add_co_u32_e32 v4, vcc, s2, v4
	s_waitcnt vmcnt(0)
	v_mul_f32_e32 v6, v3, v1
	v_mul_f32_e32 v1, v2, v1
	v_fmac_f32_e32 v6, v2, v0
	v_fma_f32 v2, v0, v3, -v1
	v_cvt_f64_f32_e32 v[0:1], v6
	v_cvt_f64_f32_e32 v[2:3], v2
	v_mov_b32_e32 v6, s3
	v_addc_co_u32_e32 v5, vcc, v5, v6, vcc
	v_mul_f64 v[0:1], v[0:1], s[0:1]
	v_mul_f64 v[2:3], v[2:3], s[0:1]
	v_cvt_f32_f64_e32 v0, v[0:1]
	v_cvt_f32_f64_e32 v1, v[2:3]
	global_store_dwordx2 v[4:5], v[0:1], off
	global_load_dwordx2 v[6:7], v91, s[8:9] offset:3432
	ds_read2_b64 v[0:3], v8 offset0:173 offset1:212
	v_add_co_u32_e32 v4, vcc, s2, v4
	s_waitcnt vmcnt(0) lgkmcnt(0)
	v_mul_f32_e32 v8, v1, v7
	v_mul_f32_e32 v7, v0, v7
	v_fmac_f32_e32 v8, v0, v6
	v_fma_f32 v6, v6, v1, -v7
	v_cvt_f64_f32_e32 v[0:1], v8
	v_cvt_f64_f32_e32 v[6:7], v6
	v_mov_b32_e32 v8, s3
	v_addc_co_u32_e32 v5, vcc, v5, v8, vcc
	v_mul_f64 v[0:1], v[0:1], s[0:1]
	v_mul_f64 v[6:7], v[6:7], s[0:1]
	v_cvt_f32_f64_e32 v0, v[0:1]
	v_cvt_f32_f64_e32 v1, v[6:7]
	global_store_dwordx2 v[4:5], v[0:1], off
	global_load_dwordx2 v[0:1], v91, s[8:9] offset:3744
	v_add_co_u32_e32 v4, vcc, s2, v4
	s_waitcnt vmcnt(0)
	v_mul_f32_e32 v6, v3, v1
	v_mul_f32_e32 v1, v2, v1
	v_fmac_f32_e32 v6, v2, v0
	v_fma_f32 v2, v0, v3, -v1
	v_cvt_f64_f32_e32 v[0:1], v6
	v_cvt_f64_f32_e32 v[2:3], v2
	v_mov_b32_e32 v6, s3
	v_addc_co_u32_e32 v5, vcc, v5, v6, vcc
	v_mul_f64 v[0:1], v[0:1], s[0:1]
	v_mul_f64 v[2:3], v[2:3], s[0:1]
	v_add_co_u32_e32 v9, vcc, s8, v91
	v_cvt_f32_f64_e32 v0, v[0:1]
	v_cvt_f32_f64_e32 v1, v[2:3]
	global_store_dwordx2 v[4:5], v[0:1], off
	global_load_dwordx2 v[6:7], v91, s[8:9] offset:4056
	v_add_u32_e32 v0, 0xc00, v91
	ds_read2_b64 v[0:3], v0 offset0:123 offset1:162
	s_waitcnt vmcnt(0) lgkmcnt(0)
	v_mul_f32_e32 v8, v1, v7
	v_mul_f32_e32 v7, v0, v7
	v_fmac_f32_e32 v8, v0, v6
	v_fma_f32 v6, v6, v1, -v7
	v_cvt_f64_f32_e32 v[0:1], v8
	v_cvt_f64_f32_e32 v[6:7], v6
	v_mov_b32_e32 v8, s9
	v_addc_co_u32_e32 v10, vcc, 0, v8, vcc
	v_mul_f64 v[0:1], v[0:1], s[0:1]
	v_mul_f64 v[6:7], v[6:7], s[0:1]
	v_add_co_u32_e32 v8, vcc, s4, v9
	v_addc_co_u32_e32 v9, vcc, 0, v10, vcc
	v_add_co_u32_e32 v4, vcc, s2, v4
	v_cvt_f32_f64_e32 v0, v[0:1]
	v_cvt_f32_f64_e32 v1, v[6:7]
	v_addc_co_u32_e32 v5, vcc, v5, v11, vcc
	global_store_dwordx2 v[4:5], v[0:1], off
	global_load_dwordx2 v[0:1], v[8:9], off offset:272
	v_add_co_u32_e32 v4, vcc, s2, v4
	s_waitcnt vmcnt(0)
	v_mul_f32_e32 v6, v3, v1
	v_mul_f32_e32 v1, v2, v1
	v_fmac_f32_e32 v6, v2, v0
	v_fma_f32 v2, v0, v3, -v1
	v_cvt_f64_f32_e32 v[0:1], v6
	v_cvt_f64_f32_e32 v[2:3], v2
	v_mov_b32_e32 v6, s3
	v_addc_co_u32_e32 v5, vcc, v5, v6, vcc
	v_mul_f64 v[0:1], v[0:1], s[0:1]
	v_mul_f64 v[2:3], v[2:3], s[0:1]
	v_cvt_f32_f64_e32 v0, v[0:1]
	v_cvt_f32_f64_e32 v1, v[2:3]
	global_store_dwordx2 v[4:5], v[0:1], off
	global_load_dwordx2 v[6:7], v[8:9], off offset:584
	v_add_u32_e32 v0, 0x1000, v91
	ds_read2_b64 v[0:3], v0 offset0:73 offset1:112
	v_add_co_u32_e32 v4, vcc, s2, v4
	s_waitcnt vmcnt(0) lgkmcnt(0)
	v_mul_f32_e32 v10, v1, v7
	v_mul_f32_e32 v7, v0, v7
	v_fmac_f32_e32 v10, v0, v6
	v_fma_f32 v6, v6, v1, -v7
	v_cvt_f64_f32_e32 v[0:1], v10
	v_cvt_f64_f32_e32 v[6:7], v6
	v_mov_b32_e32 v10, s3
	v_addc_co_u32_e32 v5, vcc, v5, v10, vcc
	v_mul_f64 v[0:1], v[0:1], s[0:1]
	v_mul_f64 v[6:7], v[6:7], s[0:1]
	v_cvt_f32_f64_e32 v0, v[0:1]
	v_cvt_f32_f64_e32 v1, v[6:7]
	global_store_dwordx2 v[4:5], v[0:1], off
	global_load_dwordx2 v[0:1], v[8:9], off offset:896
	s_waitcnt vmcnt(0)
	v_mul_f32_e32 v6, v3, v1
	v_mul_f32_e32 v1, v2, v1
	v_fmac_f32_e32 v6, v2, v0
	v_fma_f32 v2, v0, v3, -v1
	v_cvt_f64_f32_e32 v[0:1], v6
	v_cvt_f64_f32_e32 v[2:3], v2
	v_mov_b32_e32 v6, s3
	v_mul_f64 v[0:1], v[0:1], s[0:1]
	v_mul_f64 v[2:3], v[2:3], s[0:1]
	v_cvt_f32_f64_e32 v0, v[0:1]
	v_cvt_f32_f64_e32 v1, v[2:3]
	v_add_co_u32_e32 v2, vcc, s2, v4
	v_addc_co_u32_e32 v3, vcc, v5, v6, vcc
	global_store_dwordx2 v[2:3], v[0:1], off
.LBB0_23:
	s_endpgm
	.section	.rodata,"a",@progbits
	.p2align	6, 0x0
	.amdhsa_kernel bluestein_single_fwd_len663_dim1_sp_op_CI_CI
		.amdhsa_group_segment_fixed_size 5304
		.amdhsa_private_segment_fixed_size 0
		.amdhsa_kernarg_size 104
		.amdhsa_user_sgpr_count 6
		.amdhsa_user_sgpr_private_segment_buffer 1
		.amdhsa_user_sgpr_dispatch_ptr 0
		.amdhsa_user_sgpr_queue_ptr 0
		.amdhsa_user_sgpr_kernarg_segment_ptr 1
		.amdhsa_user_sgpr_dispatch_id 0
		.amdhsa_user_sgpr_flat_scratch_init 0
		.amdhsa_user_sgpr_private_segment_size 0
		.amdhsa_uses_dynamic_stack 0
		.amdhsa_system_sgpr_private_segment_wavefront_offset 0
		.amdhsa_system_sgpr_workgroup_id_x 1
		.amdhsa_system_sgpr_workgroup_id_y 0
		.amdhsa_system_sgpr_workgroup_id_z 0
		.amdhsa_system_sgpr_workgroup_info 0
		.amdhsa_system_vgpr_workitem_id 0
		.amdhsa_next_free_vgpr 256
		.amdhsa_next_free_sgpr 22
		.amdhsa_reserve_vcc 1
		.amdhsa_reserve_flat_scratch 0
		.amdhsa_float_round_mode_32 0
		.amdhsa_float_round_mode_16_64 0
		.amdhsa_float_denorm_mode_32 3
		.amdhsa_float_denorm_mode_16_64 3
		.amdhsa_dx10_clamp 1
		.amdhsa_ieee_mode 1
		.amdhsa_fp16_overflow 0
		.amdhsa_exception_fp_ieee_invalid_op 0
		.amdhsa_exception_fp_denorm_src 0
		.amdhsa_exception_fp_ieee_div_zero 0
		.amdhsa_exception_fp_ieee_overflow 0
		.amdhsa_exception_fp_ieee_underflow 0
		.amdhsa_exception_fp_ieee_inexact 0
		.amdhsa_exception_int_div_zero 0
	.end_amdhsa_kernel
	.text
.Lfunc_end0:
	.size	bluestein_single_fwd_len663_dim1_sp_op_CI_CI, .Lfunc_end0-bluestein_single_fwd_len663_dim1_sp_op_CI_CI
                                        ; -- End function
	.section	.AMDGPU.csdata,"",@progbits
; Kernel info:
; codeLenInByte = 22312
; NumSgprs: 26
; NumVgprs: 256
; ScratchSize: 0
; MemoryBound: 0
; FloatMode: 240
; IeeeMode: 1
; LDSByteSize: 5304 bytes/workgroup (compile time only)
; SGPRBlocks: 3
; VGPRBlocks: 63
; NumSGPRsForWavesPerEU: 26
; NumVGPRsForWavesPerEU: 256
; Occupancy: 1
; WaveLimiterHint : 1
; COMPUTE_PGM_RSRC2:SCRATCH_EN: 0
; COMPUTE_PGM_RSRC2:USER_SGPR: 6
; COMPUTE_PGM_RSRC2:TRAP_HANDLER: 0
; COMPUTE_PGM_RSRC2:TGID_X_EN: 1
; COMPUTE_PGM_RSRC2:TGID_Y_EN: 0
; COMPUTE_PGM_RSRC2:TGID_Z_EN: 0
; COMPUTE_PGM_RSRC2:TIDIG_COMP_CNT: 0
	.type	__hip_cuid_58f98b185d25bf19,@object ; @__hip_cuid_58f98b185d25bf19
	.section	.bss,"aw",@nobits
	.globl	__hip_cuid_58f98b185d25bf19
__hip_cuid_58f98b185d25bf19:
	.byte	0                               ; 0x0
	.size	__hip_cuid_58f98b185d25bf19, 1

	.ident	"AMD clang version 19.0.0git (https://github.com/RadeonOpenCompute/llvm-project roc-6.4.0 25133 c7fe45cf4b819c5991fe208aaa96edf142730f1d)"
	.section	".note.GNU-stack","",@progbits
	.addrsig
	.addrsig_sym __hip_cuid_58f98b185d25bf19
	.amdgpu_metadata
---
amdhsa.kernels:
  - .args:
      - .actual_access:  read_only
        .address_space:  global
        .offset:         0
        .size:           8
        .value_kind:     global_buffer
      - .actual_access:  read_only
        .address_space:  global
        .offset:         8
        .size:           8
        .value_kind:     global_buffer
      - .actual_access:  read_only
        .address_space:  global
        .offset:         16
        .size:           8
        .value_kind:     global_buffer
      - .actual_access:  read_only
        .address_space:  global
        .offset:         24
        .size:           8
        .value_kind:     global_buffer
      - .actual_access:  read_only
        .address_space:  global
        .offset:         32
        .size:           8
        .value_kind:     global_buffer
      - .offset:         40
        .size:           8
        .value_kind:     by_value
      - .address_space:  global
        .offset:         48
        .size:           8
        .value_kind:     global_buffer
      - .address_space:  global
        .offset:         56
        .size:           8
        .value_kind:     global_buffer
      - .address_space:  global
        .offset:         64
        .size:           8
        .value_kind:     global_buffer
      - .address_space:  global
        .offset:         72
        .size:           8
        .value_kind:     global_buffer
      - .offset:         80
        .size:           4
        .value_kind:     by_value
      - .address_space:  global
        .offset:         88
        .size:           8
        .value_kind:     global_buffer
      - .address_space:  global
        .offset:         96
        .size:           8
        .value_kind:     global_buffer
    .group_segment_fixed_size: 5304
    .kernarg_segment_align: 8
    .kernarg_segment_size: 104
    .language:       OpenCL C
    .language_version:
      - 2
      - 0
    .max_flat_workgroup_size: 51
    .name:           bluestein_single_fwd_len663_dim1_sp_op_CI_CI
    .private_segment_fixed_size: 0
    .sgpr_count:     26
    .sgpr_spill_count: 0
    .symbol:         bluestein_single_fwd_len663_dim1_sp_op_CI_CI.kd
    .uniform_work_group_size: 1
    .uses_dynamic_stack: false
    .vgpr_count:     256
    .vgpr_spill_count: 0
    .wavefront_size: 64
amdhsa.target:   amdgcn-amd-amdhsa--gfx906
amdhsa.version:
  - 1
  - 2
...

	.end_amdgpu_metadata
